;; amdgpu-corpus repo=ROCm/rocFFT kind=compiled arch=gfx1100 opt=O3
	.text
	.amdgcn_target "amdgcn-amd-amdhsa--gfx1100"
	.amdhsa_code_object_version 6
	.protected	fft_rtc_fwd_len1785_factors_17_3_5_7_wgs_119_tpt_119_halfLds_dp_op_CI_CI_sbrr_dirReg ; -- Begin function fft_rtc_fwd_len1785_factors_17_3_5_7_wgs_119_tpt_119_halfLds_dp_op_CI_CI_sbrr_dirReg
	.globl	fft_rtc_fwd_len1785_factors_17_3_5_7_wgs_119_tpt_119_halfLds_dp_op_CI_CI_sbrr_dirReg
	.p2align	8
	.type	fft_rtc_fwd_len1785_factors_17_3_5_7_wgs_119_tpt_119_halfLds_dp_op_CI_CI_sbrr_dirReg,@function
fft_rtc_fwd_len1785_factors_17_3_5_7_wgs_119_tpt_119_halfLds_dp_op_CI_CI_sbrr_dirReg: ; @fft_rtc_fwd_len1785_factors_17_3_5_7_wgs_119_tpt_119_halfLds_dp_op_CI_CI_sbrr_dirReg
; %bb.0:
	s_clause 0x2
	s_load_b128 s[16:19], s[0:1], 0x18
	s_load_b128 s[4:7], s[0:1], 0x0
	;; [unrolled: 1-line block ×3, first 2 shown]
	v_mul_u32_u24_e32 v1, 0x227, v0
	v_mov_b32_e32 v3, 0
	s_waitcnt lgkmcnt(0)
	s_load_b64 s[20:21], s[16:17], 0x0
	s_load_b64 s[12:13], s[18:19], 0x0
	v_lshrrev_b32_e32 v1, 16, v1
	v_cmp_lt_u64_e64 s2, s[6:7], 2
	s_delay_alu instid0(VALU_DEP_2)
	v_add_nc_u32_e32 v5, s15, v1
	v_mov_b32_e32 v1, 0
	v_mov_b32_e32 v2, 0
	;; [unrolled: 1-line block ×3, first 2 shown]
	s_and_b32 vcc_lo, exec_lo, s2
	s_cbranch_vccnz .LBB0_8
; %bb.1:
	s_load_b64 s[2:3], s[0:1], 0x10
	v_mov_b32_e32 v1, 0
	v_mov_b32_e32 v2, 0
	s_add_u32 s14, s18, 8
	s_addc_u32 s15, s19, 0
	s_add_u32 s22, s16, 8
	s_addc_u32 s23, s17, 0
	v_dual_mov_b32 v105, v2 :: v_dual_mov_b32 v104, v1
	s_mov_b64 s[26:27], 1
	s_waitcnt lgkmcnt(0)
	s_add_u32 s24, s2, 8
	s_addc_u32 s25, s3, 0
.LBB0_2:                                ; =>This Inner Loop Header: Depth=1
	s_load_b64 s[28:29], s[24:25], 0x0
                                        ; implicit-def: $vgpr106_vgpr107
	s_mov_b32 s2, exec_lo
	s_waitcnt lgkmcnt(0)
	v_or_b32_e32 v4, s29, v6
	s_delay_alu instid0(VALU_DEP_1)
	v_cmpx_ne_u64_e32 0, v[3:4]
	s_xor_b32 s3, exec_lo, s2
	s_cbranch_execz .LBB0_4
; %bb.3:                                ;   in Loop: Header=BB0_2 Depth=1
	v_cvt_f32_u32_e32 v4, s28
	v_cvt_f32_u32_e32 v7, s29
	s_sub_u32 s2, 0, s28
	s_subb_u32 s30, 0, s29
	s_delay_alu instid0(VALU_DEP_1) | instskip(NEXT) | instid1(VALU_DEP_1)
	v_fmac_f32_e32 v4, 0x4f800000, v7
	v_rcp_f32_e32 v4, v4
	s_waitcnt_depctr 0xfff
	v_mul_f32_e32 v4, 0x5f7ffffc, v4
	s_delay_alu instid0(VALU_DEP_1) | instskip(NEXT) | instid1(VALU_DEP_1)
	v_mul_f32_e32 v7, 0x2f800000, v4
	v_trunc_f32_e32 v7, v7
	s_delay_alu instid0(VALU_DEP_1) | instskip(SKIP_1) | instid1(VALU_DEP_2)
	v_fmac_f32_e32 v4, 0xcf800000, v7
	v_cvt_u32_f32_e32 v7, v7
	v_cvt_u32_f32_e32 v4, v4
	s_delay_alu instid0(VALU_DEP_2) | instskip(NEXT) | instid1(VALU_DEP_2)
	v_mul_lo_u32 v8, s2, v7
	v_mul_hi_u32 v9, s2, v4
	v_mul_lo_u32 v10, s30, v4
	s_delay_alu instid0(VALU_DEP_2) | instskip(SKIP_1) | instid1(VALU_DEP_2)
	v_add_nc_u32_e32 v8, v9, v8
	v_mul_lo_u32 v9, s2, v4
	v_add_nc_u32_e32 v8, v8, v10
	s_delay_alu instid0(VALU_DEP_2) | instskip(NEXT) | instid1(VALU_DEP_2)
	v_mul_hi_u32 v10, v4, v9
	v_mul_lo_u32 v11, v4, v8
	v_mul_hi_u32 v12, v4, v8
	v_mul_hi_u32 v13, v7, v9
	v_mul_lo_u32 v9, v7, v9
	v_mul_hi_u32 v14, v7, v8
	v_mul_lo_u32 v8, v7, v8
	v_add_co_u32 v10, vcc_lo, v10, v11
	v_add_co_ci_u32_e32 v11, vcc_lo, 0, v12, vcc_lo
	s_delay_alu instid0(VALU_DEP_2) | instskip(NEXT) | instid1(VALU_DEP_2)
	v_add_co_u32 v9, vcc_lo, v10, v9
	v_add_co_ci_u32_e32 v9, vcc_lo, v11, v13, vcc_lo
	v_add_co_ci_u32_e32 v10, vcc_lo, 0, v14, vcc_lo
	s_delay_alu instid0(VALU_DEP_2) | instskip(NEXT) | instid1(VALU_DEP_2)
	v_add_co_u32 v8, vcc_lo, v9, v8
	v_add_co_ci_u32_e32 v9, vcc_lo, 0, v10, vcc_lo
	s_delay_alu instid0(VALU_DEP_2) | instskip(NEXT) | instid1(VALU_DEP_2)
	v_add_co_u32 v4, vcc_lo, v4, v8
	v_add_co_ci_u32_e32 v7, vcc_lo, v7, v9, vcc_lo
	s_delay_alu instid0(VALU_DEP_2) | instskip(SKIP_1) | instid1(VALU_DEP_3)
	v_mul_hi_u32 v8, s2, v4
	v_mul_lo_u32 v10, s30, v4
	v_mul_lo_u32 v9, s2, v7
	s_delay_alu instid0(VALU_DEP_1) | instskip(SKIP_1) | instid1(VALU_DEP_2)
	v_add_nc_u32_e32 v8, v8, v9
	v_mul_lo_u32 v9, s2, v4
	v_add_nc_u32_e32 v8, v8, v10
	s_delay_alu instid0(VALU_DEP_2) | instskip(NEXT) | instid1(VALU_DEP_2)
	v_mul_hi_u32 v10, v4, v9
	v_mul_lo_u32 v11, v4, v8
	v_mul_hi_u32 v12, v4, v8
	v_mul_hi_u32 v13, v7, v9
	v_mul_lo_u32 v9, v7, v9
	v_mul_hi_u32 v14, v7, v8
	v_mul_lo_u32 v8, v7, v8
	v_add_co_u32 v10, vcc_lo, v10, v11
	v_add_co_ci_u32_e32 v11, vcc_lo, 0, v12, vcc_lo
	s_delay_alu instid0(VALU_DEP_2) | instskip(NEXT) | instid1(VALU_DEP_2)
	v_add_co_u32 v9, vcc_lo, v10, v9
	v_add_co_ci_u32_e32 v9, vcc_lo, v11, v13, vcc_lo
	v_add_co_ci_u32_e32 v10, vcc_lo, 0, v14, vcc_lo
	s_delay_alu instid0(VALU_DEP_2) | instskip(NEXT) | instid1(VALU_DEP_2)
	v_add_co_u32 v8, vcc_lo, v9, v8
	v_add_co_ci_u32_e32 v9, vcc_lo, 0, v10, vcc_lo
	s_delay_alu instid0(VALU_DEP_2) | instskip(NEXT) | instid1(VALU_DEP_2)
	v_add_co_u32 v4, vcc_lo, v4, v8
	v_add_co_ci_u32_e32 v13, vcc_lo, v7, v9, vcc_lo
	s_delay_alu instid0(VALU_DEP_2) | instskip(SKIP_1) | instid1(VALU_DEP_3)
	v_mul_hi_u32 v14, v5, v4
	v_mad_u64_u32 v[9:10], null, v6, v4, 0
	v_mad_u64_u32 v[7:8], null, v5, v13, 0
	;; [unrolled: 1-line block ×3, first 2 shown]
	s_delay_alu instid0(VALU_DEP_2) | instskip(NEXT) | instid1(VALU_DEP_3)
	v_add_co_u32 v4, vcc_lo, v14, v7
	v_add_co_ci_u32_e32 v7, vcc_lo, 0, v8, vcc_lo
	s_delay_alu instid0(VALU_DEP_2) | instskip(NEXT) | instid1(VALU_DEP_2)
	v_add_co_u32 v4, vcc_lo, v4, v9
	v_add_co_ci_u32_e32 v4, vcc_lo, v7, v10, vcc_lo
	v_add_co_ci_u32_e32 v7, vcc_lo, 0, v12, vcc_lo
	s_delay_alu instid0(VALU_DEP_2) | instskip(NEXT) | instid1(VALU_DEP_2)
	v_add_co_u32 v4, vcc_lo, v4, v11
	v_add_co_ci_u32_e32 v9, vcc_lo, 0, v7, vcc_lo
	s_delay_alu instid0(VALU_DEP_2) | instskip(SKIP_1) | instid1(VALU_DEP_3)
	v_mul_lo_u32 v10, s29, v4
	v_mad_u64_u32 v[7:8], null, s28, v4, 0
	v_mul_lo_u32 v11, s28, v9
	s_delay_alu instid0(VALU_DEP_2) | instskip(NEXT) | instid1(VALU_DEP_2)
	v_sub_co_u32 v7, vcc_lo, v5, v7
	v_add3_u32 v8, v8, v11, v10
	s_delay_alu instid0(VALU_DEP_1) | instskip(NEXT) | instid1(VALU_DEP_1)
	v_sub_nc_u32_e32 v10, v6, v8
	v_subrev_co_ci_u32_e64 v10, s2, s29, v10, vcc_lo
	v_add_co_u32 v11, s2, v4, 2
	s_delay_alu instid0(VALU_DEP_1) | instskip(SKIP_3) | instid1(VALU_DEP_3)
	v_add_co_ci_u32_e64 v12, s2, 0, v9, s2
	v_sub_co_u32 v13, s2, v7, s28
	v_sub_co_ci_u32_e32 v8, vcc_lo, v6, v8, vcc_lo
	v_subrev_co_ci_u32_e64 v10, s2, 0, v10, s2
	v_cmp_le_u32_e32 vcc_lo, s28, v13
	s_delay_alu instid0(VALU_DEP_3) | instskip(SKIP_1) | instid1(VALU_DEP_4)
	v_cmp_eq_u32_e64 s2, s29, v8
	v_cndmask_b32_e64 v13, 0, -1, vcc_lo
	v_cmp_le_u32_e32 vcc_lo, s29, v10
	v_cndmask_b32_e64 v14, 0, -1, vcc_lo
	v_cmp_le_u32_e32 vcc_lo, s28, v7
	;; [unrolled: 2-line block ×3, first 2 shown]
	v_cndmask_b32_e64 v15, 0, -1, vcc_lo
	v_cmp_eq_u32_e32 vcc_lo, s29, v10
	s_delay_alu instid0(VALU_DEP_2) | instskip(SKIP_3) | instid1(VALU_DEP_3)
	v_cndmask_b32_e64 v7, v15, v7, s2
	v_cndmask_b32_e32 v10, v14, v13, vcc_lo
	v_add_co_u32 v13, vcc_lo, v4, 1
	v_add_co_ci_u32_e32 v14, vcc_lo, 0, v9, vcc_lo
	v_cmp_ne_u32_e32 vcc_lo, 0, v10
	s_delay_alu instid0(VALU_DEP_2) | instskip(NEXT) | instid1(VALU_DEP_4)
	v_cndmask_b32_e32 v8, v14, v12, vcc_lo
	v_cndmask_b32_e32 v10, v13, v11, vcc_lo
	v_cmp_ne_u32_e32 vcc_lo, 0, v7
	s_delay_alu instid0(VALU_DEP_2)
	v_dual_cndmask_b32 v107, v9, v8 :: v_dual_cndmask_b32 v106, v4, v10
.LBB0_4:                                ;   in Loop: Header=BB0_2 Depth=1
	s_and_not1_saveexec_b32 s2, s3
	s_cbranch_execz .LBB0_6
; %bb.5:                                ;   in Loop: Header=BB0_2 Depth=1
	v_cvt_f32_u32_e32 v4, s28
	s_sub_i32 s3, 0, s28
	v_mov_b32_e32 v107, v3
	s_delay_alu instid0(VALU_DEP_2) | instskip(SKIP_2) | instid1(VALU_DEP_1)
	v_rcp_iflag_f32_e32 v4, v4
	s_waitcnt_depctr 0xfff
	v_mul_f32_e32 v4, 0x4f7ffffe, v4
	v_cvt_u32_f32_e32 v4, v4
	s_delay_alu instid0(VALU_DEP_1) | instskip(NEXT) | instid1(VALU_DEP_1)
	v_mul_lo_u32 v7, s3, v4
	v_mul_hi_u32 v7, v4, v7
	s_delay_alu instid0(VALU_DEP_1) | instskip(NEXT) | instid1(VALU_DEP_1)
	v_add_nc_u32_e32 v4, v4, v7
	v_mul_hi_u32 v4, v5, v4
	s_delay_alu instid0(VALU_DEP_1) | instskip(SKIP_1) | instid1(VALU_DEP_2)
	v_mul_lo_u32 v7, v4, s28
	v_add_nc_u32_e32 v8, 1, v4
	v_sub_nc_u32_e32 v7, v5, v7
	s_delay_alu instid0(VALU_DEP_1) | instskip(SKIP_1) | instid1(VALU_DEP_2)
	v_subrev_nc_u32_e32 v9, s28, v7
	v_cmp_le_u32_e32 vcc_lo, s28, v7
	v_dual_cndmask_b32 v7, v7, v9 :: v_dual_cndmask_b32 v4, v4, v8
	s_delay_alu instid0(VALU_DEP_1) | instskip(NEXT) | instid1(VALU_DEP_2)
	v_cmp_le_u32_e32 vcc_lo, s28, v7
	v_add_nc_u32_e32 v8, 1, v4
	s_delay_alu instid0(VALU_DEP_1)
	v_cndmask_b32_e32 v106, v4, v8, vcc_lo
.LBB0_6:                                ;   in Loop: Header=BB0_2 Depth=1
	s_or_b32 exec_lo, exec_lo, s2
	s_delay_alu instid0(VALU_DEP_1) | instskip(NEXT) | instid1(VALU_DEP_2)
	v_mul_lo_u32 v4, v107, s28
	v_mul_lo_u32 v9, v106, s29
	s_load_b64 s[2:3], s[22:23], 0x0
	v_mad_u64_u32 v[7:8], null, v106, s28, 0
	s_load_b64 s[28:29], s[14:15], 0x0
	s_add_u32 s26, s26, 1
	s_addc_u32 s27, s27, 0
	s_add_u32 s14, s14, 8
	s_addc_u32 s15, s15, 0
	s_add_u32 s22, s22, 8
	s_delay_alu instid0(VALU_DEP_1) | instskip(SKIP_3) | instid1(VALU_DEP_2)
	v_add3_u32 v4, v8, v9, v4
	v_sub_co_u32 v8, vcc_lo, v5, v7
	s_addc_u32 s23, s23, 0
	s_add_u32 s24, s24, 8
	v_sub_co_ci_u32_e32 v6, vcc_lo, v6, v4, vcc_lo
	s_addc_u32 s25, s25, 0
	s_waitcnt lgkmcnt(0)
	s_delay_alu instid0(VALU_DEP_1)
	v_mul_lo_u32 v9, s2, v6
	v_mul_lo_u32 v10, s3, v8
	v_mad_u64_u32 v[4:5], null, s2, v8, v[1:2]
	v_mul_lo_u32 v11, s28, v6
	v_mul_lo_u32 v12, s29, v8
	v_mad_u64_u32 v[6:7], null, s28, v8, v[104:105]
	v_cmp_ge_u64_e64 s2, s[26:27], s[6:7]
	v_add3_u32 v2, v10, v5, v9
	s_delay_alu instid0(VALU_DEP_3) | instskip(NEXT) | instid1(VALU_DEP_4)
	v_dual_mov_b32 v1, v4 :: v_dual_mov_b32 v104, v6
	v_add3_u32 v105, v12, v7, v11
	s_delay_alu instid0(VALU_DEP_4)
	s_and_b32 vcc_lo, exec_lo, s2
	s_cbranch_vccnz .LBB0_9
; %bb.7:                                ;   in Loop: Header=BB0_2 Depth=1
	v_dual_mov_b32 v5, v106 :: v_dual_mov_b32 v6, v107
	s_branch .LBB0_2
.LBB0_8:
	s_delay_alu instid0(VALU_DEP_2) | instskip(NEXT) | instid1(VALU_DEP_2)
	v_dual_mov_b32 v105, v2 :: v_dual_mov_b32 v104, v1
	v_dual_mov_b32 v107, v6 :: v_dual_mov_b32 v106, v5
.LBB0_9:
	s_load_b64 s[0:1], s[0:1], 0x28
	v_mul_hi_u32 v3, 0x226b903, v0
	s_lshl_b64 s[6:7], s[6:7], 3
                                        ; implicit-def: $vgpr8_vgpr9
                                        ; implicit-def: $vgpr14_vgpr15
                                        ; implicit-def: $vgpr18_vgpr19
                                        ; implicit-def: $vgpr26_vgpr27
                                        ; implicit-def: $vgpr30_vgpr31
                                        ; implicit-def: $vgpr34_vgpr35
                                        ; implicit-def: $vgpr42_vgpr43
                                        ; implicit-def: $vgpr38_vgpr39
                                        ; implicit-def: $vgpr46_vgpr47
                                        ; implicit-def: $vgpr54_vgpr55
                                        ; implicit-def: $vgpr74_vgpr75
                                        ; implicit-def: $vgpr58_vgpr59
                                        ; implicit-def: $vgpr62_vgpr63
                                        ; implicit-def: $vgpr66_vgpr67
                                        ; implicit-def: $vgpr70_vgpr71
                                        ; implicit-def: $vgpr50_vgpr51
                                        ; implicit-def: $vgpr22_vgpr23
	s_delay_alu instid0(SALU_CYCLE_1) | instskip(SKIP_1) | instid1(VALU_DEP_1)
	s_add_u32 s2, s18, s6
	s_addc_u32 s3, s19, s7
	v_mul_u32_u24_e32 v3, 0x77, v3
	s_delay_alu instid0(VALU_DEP_1) | instskip(SKIP_2) | instid1(VALU_DEP_2)
	v_sub_nc_u32_e32 v142, v0, v3
	s_waitcnt lgkmcnt(0)
	v_cmp_gt_u64_e32 vcc_lo, s[0:1], v[106:107]
	v_cmp_gt_u32_e64 s0, 0x69, v142
	s_delay_alu instid0(VALU_DEP_1) | instskip(NEXT) | instid1(SALU_CYCLE_1)
	s_and_b32 s1, vcc_lo, s0
	s_and_saveexec_b32 s14, s1
	s_cbranch_execz .LBB0_11
; %bb.10:
	s_add_u32 s6, s16, s6
	s_addc_u32 s7, s17, s7
	v_mad_u64_u32 v[3:4], null, s20, v142, 0
	s_load_b64 s[6:7], s[6:7], 0x0
	v_add_nc_u32_e32 v15, 0x69, v142
	v_add_nc_u32_e32 v16, 0xd2, v142
	s_delay_alu instid0(VALU_DEP_3) | instskip(NEXT) | instid1(VALU_DEP_3)
	v_dual_mov_b32 v0, v4 :: v_dual_add_nc_u32 v25, 0x690, v142
	v_mad_u64_u32 v[5:6], null, s20, v15, 0
	s_delay_alu instid0(VALU_DEP_3) | instskip(NEXT) | instid1(VALU_DEP_3)
	v_mad_u64_u32 v[7:8], null, s20, v16, 0
	v_mad_u64_u32 v[13:14], null, s21, v142, v[0:1]
	v_add_nc_u32_e32 v17, 0x13b, v142
	v_lshlrev_b64 v[0:1], 4, v[1:2]
	v_dual_mov_b32 v2, v6 :: v_dual_add_nc_u32 v19, 0x1a4, v142
	v_mov_b32_e32 v6, v8
	s_delay_alu instid0(VALU_DEP_4) | instskip(SKIP_4) | instid1(VALU_DEP_1)
	v_mad_u64_u32 v[11:12], null, s20, v17, 0
	s_waitcnt lgkmcnt(0)
	v_mul_lo_u32 v4, s7, v106
	v_mul_lo_u32 v18, s6, v107
	v_mad_u64_u32 v[9:10], null, s6, v106, 0
	v_add3_u32 v10, v10, v18, v4
	v_mov_b32_e32 v4, v13
	v_mad_u64_u32 v[13:14], null, s21, v15, v[2:3]
	v_mad_u64_u32 v[14:15], null, s21, v16, v[6:7]
	s_delay_alu instid0(VALU_DEP_4) | instskip(NEXT) | instid1(VALU_DEP_4)
	v_lshlrev_b64 v[8:9], 4, v[9:10]
	v_lshlrev_b64 v[2:3], 4, v[3:4]
	v_add_nc_u32_e32 v15, 0x2df, v142
	v_add_nc_u32_e32 v16, 0x348, v142
	v_mov_b32_e32 v6, v13
	v_add_co_u32 v4, s1, s8, v8
	s_delay_alu instid0(VALU_DEP_1) | instskip(SKIP_1) | instid1(VALU_DEP_3)
	v_add_co_ci_u32_e64 v8, s1, s9, v9, s1
	v_mad_u64_u32 v[9:10], null, s21, v17, v[12:13]
	v_add_co_u32 v18, s1, v4, v0
	s_delay_alu instid0(VALU_DEP_1) | instskip(SKIP_1) | instid1(VALU_DEP_3)
	v_add_co_ci_u32_e64 v24, s1, v8, v1, s1
	v_lshlrev_b64 v[0:1], 4, v[5:6]
	v_add_co_u32 v2, s1, v18, v2
	v_mad_u64_u32 v[4:5], null, s20, v19, 0
	s_delay_alu instid0(VALU_DEP_4) | instskip(NEXT) | instid1(VALU_DEP_4)
	v_add_co_ci_u32_e64 v3, s1, v24, v3, s1
	v_add_co_u32 v0, s1, v18, v0
	s_delay_alu instid0(VALU_DEP_1)
	v_add_co_ci_u32_e64 v1, s1, v24, v1, s1
	v_dual_mov_b32 v8, v14 :: v_dual_add_nc_u32 v13, 0x20d, v142
	s_clause 0x1
	global_load_b128 v[20:23], v[2:3], off
	global_load_b128 v[48:51], v[0:1], off
	v_mov_b32_e32 v2, v5
	v_dual_mov_b32 v12, v9 :: v_dual_add_nc_u32 v17, 0x41a, v142
	v_lshlrev_b64 v[0:1], 4, v[7:8]
	v_mad_u64_u32 v[6:7], null, s20, v13, 0
	s_delay_alu instid0(VALU_DEP_4)
	v_mad_u64_u32 v[8:9], null, s21, v19, v[2:3]
	v_add_nc_u32_e32 v14, 0x276, v142
	v_lshlrev_b64 v[9:10], 4, v[11:12]
	v_add_co_u32 v0, s1, v18, v0
	v_mov_b32_e32 v2, v7
	v_add_co_ci_u32_e64 v1, s1, v24, v1, s1
	v_mov_b32_e32 v5, v8
	v_add_nc_u32_e32 v19, 0x627, v142
	s_delay_alu instid0(VALU_DEP_4) | instskip(SKIP_1) | instid1(VALU_DEP_4)
	v_mad_u64_u32 v[7:8], null, s21, v13, v[2:3]
	v_mad_u64_u32 v[2:3], null, s20, v14, 0
	v_lshlrev_b64 v[4:5], 4, v[4:5]
	v_add_co_u32 v8, s1, v18, v9
	s_delay_alu instid0(VALU_DEP_1) | instskip(SKIP_1) | instid1(VALU_DEP_4)
	v_add_co_ci_u32_e64 v9, s1, v24, v10, s1
	v_mad_u64_u32 v[10:11], null, s20, v15, 0
	v_mad_u64_u32 v[12:13], null, s21, v14, v[3:4]
	v_lshlrev_b64 v[6:7], 4, v[6:7]
	v_add_co_u32 v4, s1, v18, v4
	s_delay_alu instid0(VALU_DEP_1) | instskip(NEXT) | instid1(VALU_DEP_4)
	v_add_co_ci_u32_e64 v5, s1, v24, v5, s1
	v_mov_b32_e32 v3, v12
	v_mad_u64_u32 v[12:13], null, s21, v15, v[11:12]
	v_mad_u64_u32 v[13:14], null, s20, v16, 0
	v_add_nc_u32_e32 v15, 0x3b1, v142
	v_add_co_u32 v6, s1, v18, v6
	s_delay_alu instid0(VALU_DEP_1)
	v_add_co_ci_u32_e64 v7, s1, v24, v7, s1
	v_mov_b32_e32 v11, v12
	s_clause 0x3
	global_load_b128 v[68:71], v[0:1], off
	global_load_b128 v[64:67], v[8:9], off
	;; [unrolled: 1-line block ×4, first 2 shown]
	v_lshlrev_b64 v[0:1], 4, v[2:3]
	v_mad_u64_u32 v[3:4], null, s20, v15, 0
	v_mov_b32_e32 v2, v14
	v_lshlrev_b64 v[5:6], 4, v[10:11]
	s_delay_alu instid0(VALU_DEP_4) | instskip(NEXT) | instid1(VALU_DEP_1)
	v_add_co_u32 v0, s1, v18, v0
	v_add_co_ci_u32_e64 v1, s1, v24, v1, s1
	s_delay_alu instid0(VALU_DEP_4)
	v_mad_u64_u32 v[7:8], null, s21, v16, v[2:3]
	v_mov_b32_e32 v2, v4
	v_add_co_u32 v4, s1, v18, v5
	v_mad_u64_u32 v[8:9], null, s20, v17, 0
	v_add_co_ci_u32_e64 v5, s1, v24, v6, s1
	v_mov_b32_e32 v14, v7
	v_mad_u64_u32 v[6:7], null, s21, v15, v[2:3]
	v_add_nc_u32_e32 v16, 0x483, v142
	v_mov_b32_e32 v2, v9
	s_clause 0x1
	global_load_b128 v[72:75], v[0:1], off
	global_load_b128 v[52:55], v[4:5], off
	v_lshlrev_b64 v[0:1], 4, v[13:14]
	v_mad_u64_u32 v[10:11], null, s20, v16, 0
	v_mov_b32_e32 v4, v6
	v_mad_u64_u32 v[12:13], null, s21, v17, v[2:3]
	s_delay_alu instid0(VALU_DEP_4) | instskip(NEXT) | instid1(VALU_DEP_3)
	v_add_co_u32 v0, s1, v18, v0
	v_lshlrev_b64 v[3:4], 4, v[3:4]
	v_mov_b32_e32 v2, v11
	v_add_co_ci_u32_e64 v1, s1, v24, v1, s1
	v_dual_mov_b32 v9, v12 :: v_dual_add_nc_u32 v12, 0x4ec, v142
	s_delay_alu instid0(VALU_DEP_3) | instskip(SKIP_1) | instid1(VALU_DEP_3)
	v_mad_u64_u32 v[5:6], null, s21, v16, v[2:3]
	v_add_co_u32 v2, s1, v18, v3
	v_lshlrev_b64 v[6:7], 4, v[8:9]
	s_delay_alu instid0(VALU_DEP_4)
	v_mad_u64_u32 v[8:9], null, s20, v12, 0
	v_add_co_ci_u32_e64 v3, s1, v24, v4, s1
	v_mov_b32_e32 v11, v5
	s_clause 0x1
	global_load_b128 v[44:47], v[0:1], off
	global_load_b128 v[36:39], v[2:3], off
	v_add_nc_u32_e32 v16, 0x555, v142
	v_mov_b32_e32 v2, v9
	v_lshlrev_b64 v[3:4], 4, v[10:11]
	v_add_nc_u32_e32 v17, 0x5be, v142
	v_add_co_u32 v0, s1, v18, v6
	s_delay_alu instid0(VALU_DEP_1) | instskip(NEXT) | instid1(VALU_DEP_4)
	v_add_co_ci_u32_e64 v1, s1, v24, v7, s1
	v_mad_u64_u32 v[5:6], null, s21, v12, v[2:3]
	v_mad_u64_u32 v[6:7], null, s20, v16, 0
	;; [unrolled: 1-line block ×3, first 2 shown]
	v_add_co_u32 v2, s1, v18, v3
	s_delay_alu instid0(VALU_DEP_1) | instskip(NEXT) | instid1(VALU_DEP_4)
	v_add_co_ci_u32_e64 v3, s1, v24, v4, s1
	v_dual_mov_b32 v9, v5 :: v_dual_mov_b32 v4, v7
	s_delay_alu instid0(VALU_DEP_4)
	v_mov_b32_e32 v5, v11
	v_mad_u64_u32 v[12:13], null, s20, v19, 0
	s_clause 0x1
	global_load_b128 v[40:43], v[0:1], off
	global_load_b128 v[32:35], v[2:3], off
	v_lshlrev_b64 v[1:2], 4, v[8:9]
	v_mad_u64_u32 v[14:15], null, s21, v16, v[4:5]
	v_mad_u64_u32 v[15:16], null, s21, v17, v[5:6]
	;; [unrolled: 1-line block ×3, first 2 shown]
	s_delay_alu instid0(VALU_DEP_3) | instskip(NEXT) | instid1(VALU_DEP_3)
	v_dual_mov_b32 v0, v13 :: v_dual_mov_b32 v7, v14
	v_mov_b32_e32 v11, v15
	s_delay_alu instid0(VALU_DEP_2) | instskip(NEXT) | instid1(VALU_DEP_4)
	v_mad_u64_u32 v[8:9], null, s21, v19, v[0:1]
	v_mov_b32_e32 v0, v5
	v_add_co_u32 v1, s1, v18, v1
	v_lshlrev_b64 v[5:6], 4, v[6:7]
	v_add_co_ci_u32_e64 v2, s1, v24, v2, s1
	s_delay_alu instid0(VALU_DEP_3) | instskip(SKIP_3) | instid1(VALU_DEP_1)
	v_mad_u64_u32 v[14:15], null, s21, v25, v[0:1]
	v_mov_b32_e32 v13, v8
	v_lshlrev_b64 v[9:10], 4, v[10:11]
	v_add_co_u32 v7, s1, v18, v5
	v_add_co_ci_u32_e64 v8, s1, v24, v6, s1
	v_mov_b32_e32 v5, v14
	v_lshlrev_b64 v[11:12], 4, v[12:13]
	v_add_co_u32 v9, s1, v18, v9
	s_delay_alu instid0(VALU_DEP_1) | instskip(NEXT) | instid1(VALU_DEP_4)
	v_add_co_ci_u32_e64 v10, s1, v24, v10, s1
	v_lshlrev_b64 v[3:4], 4, v[4:5]
	s_delay_alu instid0(VALU_DEP_4) | instskip(NEXT) | instid1(VALU_DEP_1)
	v_add_co_u32 v5, s1, v18, v11
	v_add_co_ci_u32_e64 v6, s1, v24, v12, s1
	s_delay_alu instid0(VALU_DEP_3) | instskip(NEXT) | instid1(VALU_DEP_1)
	v_add_co_u32 v3, s1, v18, v3
	v_add_co_ci_u32_e64 v4, s1, v24, v4, s1
	s_clause 0x4
	global_load_b128 v[28:31], v[1:2], off
	global_load_b128 v[24:27], v[7:8], off
	;; [unrolled: 1-line block ×5, first 2 shown]
.LBB0_11:
	s_or_b32 exec_lo, exec_lo, s14
	s_waitcnt vmcnt(0)
	v_add_f64 v[122:123], v[6:7], v[48:49]
	s_mov_b32 s6, 0x370991
	s_mov_b32 s22, 0x75d4884
	s_mov_b32 s7, 0x3fedd6d0
	s_mov_b32 s23, 0x3fe7a5f6
	v_add_f64 v[136:137], v[50:51], -v[8:9]
	v_add_f64 v[92:93], v[12:13], v[68:69]
	s_mov_b32 s28, 0x5d8e7cdc
	s_mov_b32 s24, 0x3259b75e
	s_mov_b32 s36, 0x2a9d6da3
	s_mov_b32 s29, 0xbfd71e95
	s_mov_b32 s25, 0x3fb79ee6
	s_mov_b32 s37, 0xbfe58eea
	v_add_f64 v[138:139], v[70:71], -v[14:15]
	v_add_f64 v[94:95], v[16:17], v[64:65]
	s_mov_b32 s26, 0xeb564b22
	s_mov_b32 s14, 0x2b2883cd
	;; [unrolled: 8-line block ×4, first 2 shown]
	s_mov_b32 s16, 0x910ea3b9
	s_mov_b32 s35, 0xbfc7851a
	;; [unrolled: 1-line block ×4, first 2 shown]
	v_add_f64 v[118:119], v[58:59], -v[30:31]
	v_mul_f64 v[132:133], v[122:123], s[6:7]
	v_mul_f64 v[134:135], v[122:123], s[22:23]
	v_add_f64 v[76:77], v[32:33], v[72:73]
	s_mov_b32 s40, 0x923c349f
	s_mov_b32 s42, 0x4363dd80
	;; [unrolled: 1-line block ×3, first 2 shown]
	v_mul_f64 v[116:117], v[92:93], s[22:23]
	v_mul_f64 v[120:121], v[92:93], s[24:25]
	s_mov_b32 s43, 0x3fe0d888
	v_add_f64 v[114:115], v[74:75], -v[34:35]
	s_mov_b32 s45, 0x3feec746
	s_mov_b32 s44, s40
	v_add_f64 v[102:103], v[54:55], -v[42:43]
	s_mov_b32 s47, 0xbfe0d888
	v_mul_f64 v[126:127], v[94:95], s[14:15]
	v_mul_f64 v[128:129], v[94:95], s[20:21]
	s_mov_b32 s49, 0x3feca52d
	s_mov_b32 s46, s42
	;; [unrolled: 1-line block ×3, first 2 shown]
	v_add_f64 v[98:99], v[46:47], -v[38:39]
	s_mov_b32 s51, 0x3fd71e95
	s_mov_b32 s50, s28
	v_mul_f64 v[108:109], v[80:81], s[24:25]
	v_mul_f64 v[110:111], v[80:81], s[8:9]
	v_mul_f64 v[100:101], v[78:79], s[18:19]
	v_mul_f64 v[112:113], v[78:79], s[16:17]
	v_fma_f64 v[0:1], v[136:137], s[28:29], v[132:133]
	v_fma_f64 v[2:3], v[136:137], s[36:37], v[134:135]
	v_mul_f64 v[86:87], v[76:77], s[20:21]
	v_mul_f64 v[96:97], v[76:77], s[18:19]
	v_fma_f64 v[4:5], v[138:139], s[36:37], v[116:117]
	v_fma_f64 v[10:11], v[138:139], s[26:27], v[120:121]
	;; [unrolled: 1-line block ×5, first 2 shown]
	v_add_f64 v[0:1], v[20:21], v[0:1]
	v_add_f64 v[2:3], v[20:21], v[2:3]
	v_fma_f64 v[140:141], v[114:115], s[30:31], v[86:87]
	v_fma_f64 v[143:144], v[114:115], s[44:45], v[96:97]
	s_delay_alu instid0(VALU_DEP_4) | instskip(NEXT) | instid1(VALU_DEP_4)
	v_add_f64 v[0:1], v[4:5], v[0:1]
	v_add_f64 v[2:3], v[10:11], v[2:3]
	v_fma_f64 v[4:5], v[124:125], s[26:27], v[108:109]
	v_add_f64 v[10:11], v[40:41], v[52:53]
	s_delay_alu instid0(VALU_DEP_4) | instskip(NEXT) | instid1(VALU_DEP_4)
	v_add_f64 v[0:1], v[82:83], v[0:1]
	v_add_f64 v[2:3], v[84:85], v[2:3]
	v_fma_f64 v[82:83], v[118:119], s[40:41], v[100:101]
	v_fma_f64 v[84:85], v[118:119], s[42:43], v[112:113]
	v_mul_f64 v[90:91], v[10:11], s[14:15]
	v_add_f64 v[4:5], v[4:5], v[0:1]
	v_add_f64 v[2:3], v[88:89], v[2:3]
	;; [unrolled: 1-line block ×3, first 2 shown]
	v_mul_f64 v[88:89], v[10:11], s[16:17]
	v_fma_f64 v[147:148], v[102:103], s[48:49], v[90:91]
	v_add_f64 v[4:5], v[82:83], v[4:5]
	v_add_f64 v[2:3], v[84:85], v[2:3]
	v_mul_f64 v[82:83], v[0:1], s[8:9]
	v_mul_f64 v[84:85], v[0:1], s[6:7]
	v_fma_f64 v[145:146], v[102:103], s[46:47], v[88:89]
	v_add_f64 v[4:5], v[140:141], v[4:5]
	v_add_f64 v[2:3], v[143:144], v[2:3]
	v_fma_f64 v[140:141], v[98:99], s[34:35], v[82:83]
	v_fma_f64 v[143:144], v[98:99], s[50:51], v[84:85]
	s_delay_alu instid0(VALU_DEP_4) | instskip(NEXT) | instid1(VALU_DEP_4)
	v_add_f64 v[4:5], v[145:146], v[4:5]
	v_add_f64 v[2:3], v[147:148], v[2:3]
	s_delay_alu instid0(VALU_DEP_2) | instskip(NEXT) | instid1(VALU_DEP_2)
	v_add_f64 v[4:5], v[140:141], v[4:5]
	v_add_f64 v[2:3], v[143:144], v[2:3]
	s_and_saveexec_b32 s1, s0
	s_cbranch_execz .LBB0_13
; %bb.12:
	v_add_f64 v[140:141], v[48:49], v[20:21]
	v_mul_f64 v[143:144], v[136:137], s[34:35]
	v_mul_f64 v[145:146], v[136:137], s[46:47]
	;; [unrolled: 1-line block ×16, first 2 shown]
	s_mov_b32 s53, 0x3fe58eea
	s_mov_b32 s52, s36
	;; [unrolled: 1-line block ×4, first 2 shown]
	v_mul_f64 v[157:158], v[130:131], s[46:47]
	v_mul_f64 v[175:176], v[130:131], s[26:27]
	;; [unrolled: 1-line block ×6, first 2 shown]
	s_mov_b32 s55, 0x3fe9895b
	s_mov_b32 s54, s30
	v_mul_f64 v[193:194], v[124:125], s[50:51]
	v_add_f64 v[140:141], v[68:69], v[140:141]
	v_fma_f64 v[169:170], v[122:123], s[8:9], v[143:144]
	v_fma_f64 v[143:144], v[122:123], s[8:9], -v[143:144]
	v_fma_f64 v[173:174], v[122:123], s[16:17], v[145:146]
	v_fma_f64 v[145:146], v[122:123], s[16:17], -v[145:146]
	;; [unrolled: 2-line block ×3, first 2 shown]
	v_fma_f64 v[187:188], v[122:123], s[18:19], -v[149:150]
	v_fma_f64 v[189:190], v[122:123], s[24:25], -v[151:152]
	v_fma_f64 v[149:150], v[122:123], s[18:19], v[149:150]
	v_fma_f64 v[151:152], v[122:123], s[24:25], v[151:152]
	;; [unrolled: 1-line block ×3, first 2 shown]
	v_fma_f64 v[122:123], v[122:123], s[14:15], -v[153:154]
	v_add_f64 v[132:133], v[132:133], -v[155:156]
	v_add_f64 v[134:135], v[134:135], -v[136:137]
	v_fma_f64 v[199:200], v[92:93], s[6:7], v[159:160]
	v_fma_f64 v[159:160], v[92:93], s[6:7], -v[159:160]
	v_fma_f64 v[201:202], v[92:93], s[14:15], v[161:162]
	v_fma_f64 v[161:162], v[92:93], s[14:15], -v[161:162]
	;; [unrolled: 2-line block ×6, first 2 shown]
	v_add_f64 v[120:121], v[120:121], -v[183:184]
	v_add_f64 v[116:117], v[116:117], -v[138:139]
	v_mul_f64 v[153:154], v[124:125], s[46:47]
	v_mul_f64 v[155:156], v[124:125], s[38:39]
	v_fma_f64 v[197:198], v[94:95], s[16:17], v[157:158]
	v_fma_f64 v[157:158], v[94:95], s[16:17], -v[157:158]
	v_add_f64 v[128:129], v[128:129], -v[179:180]
	v_fma_f64 v[179:180], v[94:95], s[6:7], v[177:178]
	v_fma_f64 v[177:178], v[94:95], s[6:7], -v[177:178]
	v_add_f64 v[140:141], v[64:65], v[140:141]
	v_add_f64 v[169:170], v[20:21], v[169:170]
	;; [unrolled: 1-line block ×15, first 2 shown]
	v_fma_f64 v[187:188], v[94:95], s[18:19], v[181:182]
	v_fma_f64 v[181:182], v[94:95], s[18:19], -v[181:182]
	v_fma_f64 v[189:190], v[94:95], s[22:23], -v[195:196]
	v_add_f64 v[140:141], v[60:61], v[140:141]
	v_add_f64 v[169:170], v[199:200], v[169:170]
	;; [unrolled: 1-line block ×3, first 2 shown]
	v_mul_f64 v[159:160], v[124:125], s[26:27]
	v_add_f64 v[173:174], v[201:202], v[173:174]
	v_mul_f64 v[199:200], v[124:125], s[52:53]
	v_add_f64 v[145:146], v[161:162], v[145:146]
	v_add_f64 v[138:139], v[203:204], v[138:139]
	;; [unrolled: 1-line block ×11, first 2 shown]
	v_mul_f64 v[161:162], v[118:119], s[42:43]
	v_mul_f64 v[122:123], v[118:119], s[30:31]
	;; [unrolled: 1-line block ×5, first 2 shown]
	v_fma_f64 v[201:202], v[80:81], s[16:17], v[153:154]
	v_fma_f64 v[153:154], v[80:81], s[16:17], -v[153:154]
	v_fma_f64 v[203:204], v[80:81], s[14:15], v[155:156]
	v_fma_f64 v[155:156], v[80:81], s[14:15], -v[155:156]
	;; [unrolled: 2-line block ×3, first 2 shown]
	v_add_f64 v[140:141], v[56:57], v[140:141]
	v_add_f64 v[143:144], v[157:158], v[143:144]
	v_add_f64 v[108:109], v[108:109], -v[159:160]
	v_fma_f64 v[159:160], v[80:81], s[22:23], v[199:200]
	v_add_f64 v[138:139], v[179:180], v[138:139]
	v_add_f64 v[147:148], v[177:178], v[147:148]
	;; [unrolled: 1-line block ×4, first 2 shown]
	v_mul_f64 v[165:166], v[114:115], s[36:37]
	v_add_f64 v[20:21], v[128:129], v[20:21]
	v_mul_f64 v[128:129], v[114:115], s[34:35]
	v_add_f64 v[112:113], v[112:113], -v[161:162]
	v_fma_f64 v[161:162], v[78:79], s[20:21], v[122:123]
	v_fma_f64 v[122:123], v[78:79], s[20:21], -v[122:123]
	v_fma_f64 v[179:180], v[78:79], s[14:15], v[171:172]
	v_fma_f64 v[171:172], v[78:79], s[14:15], -v[171:172]
	v_add_f64 v[100:101], v[100:101], -v[183:184]
	v_add_f64 v[140:141], v[72:73], v[140:141]
	v_add_f64 v[138:139], v[201:202], v[138:139]
	s_delay_alu instid0(VALU_DEP_2) | instskip(NEXT) | instid1(VALU_DEP_1)
	v_add_f64 v[140:141], v[52:53], v[140:141]
	v_add_f64 v[136:137], v[44:45], v[140:141]
	v_mul_f64 v[140:141], v[130:131], s[38:39]
	v_mul_f64 v[130:131], v[130:131], s[56:57]
	s_mov_b32 s57, 0x3fefdd0d
	s_mov_b32 s56, s26
	s_delay_alu instid0(SALU_CYCLE_1) | instskip(NEXT) | instid1(VALU_DEP_4)
	v_mul_f64 v[185:186], v[118:119], s[56:57]
	v_add_f64 v[134:135], v[36:37], v[136:137]
	v_fma_f64 v[136:137], v[94:95], s[24:25], v[175:176]
	v_fma_f64 v[175:176], v[94:95], s[24:25], -v[175:176]
	v_add_f64 v[126:127], v[126:127], -v[140:141]
	v_fma_f64 v[140:141], v[94:95], s[22:23], v[195:196]
	v_fma_f64 v[191:192], v[94:95], s[8:9], v[130:131]
	v_fma_f64 v[94:95], v[94:95], s[8:9], -v[130:131]
	v_mul_f64 v[130:131], v[124:125], s[44:45]
	v_mul_f64 v[195:196], v[124:125], s[34:35]
	;; [unrolled: 1-line block ×3, first 2 shown]
	v_fma_f64 v[181:182], v[78:79], s[24:25], v[185:186]
	v_fma_f64 v[183:184], v[78:79], s[24:25], -v[185:186]
	v_add_f64 v[120:121], v[40:41], v[134:135]
	v_mul_f64 v[134:135], v[118:119], s[34:35]
	v_mul_f64 v[118:119], v[118:119], s[52:53]
	v_add_f64 v[136:137], v[136:137], v[173:174]
	v_add_f64 v[145:146], v[175:176], v[145:146]
	;; [unrolled: 1-line block ×4, first 2 shown]
	v_fma_f64 v[207:208], v[80:81], s[18:19], v[130:131]
	v_fma_f64 v[130:131], v[80:81], s[18:19], -v[130:131]
	v_add_f64 v[110:111], v[110:111], -v[195:196]
	v_fma_f64 v[195:196], v[80:81], s[22:23], -v[199:200]
	v_fma_f64 v[199:200], v[80:81], s[20:21], v[124:125]
	v_fma_f64 v[80:81], v[80:81], s[20:21], -v[124:125]
	v_add_f64 v[124:125], v[197:198], v[169:170]
	v_add_f64 v[151:152], v[191:192], v[167:168]
	;; [unrolled: 1-line block ×4, first 2 shown]
	v_mul_f64 v[126:127], v[114:115], s[48:49]
	v_mul_f64 v[167:168], v[114:115], s[46:47]
	;; [unrolled: 1-line block ×4, first 2 shown]
	v_fma_f64 v[175:176], v[78:79], s[6:7], v[132:133]
	v_fma_f64 v[132:133], v[78:79], s[6:7], -v[132:133]
	v_fma_f64 v[187:188], v[76:77], s[22:23], v[165:166]
	v_fma_f64 v[165:166], v[76:77], s[22:23], -v[165:166]
	v_add_f64 v[116:117], v[32:33], v[120:121]
	v_mul_f64 v[120:121], v[114:115], s[44:45]
	v_mul_f64 v[114:115], v[114:115], s[56:57]
	v_fma_f64 v[177:178], v[78:79], s[8:9], v[134:135]
	v_fma_f64 v[134:135], v[78:79], s[8:9], -v[134:135]
	v_fma_f64 v[185:186], v[78:79], s[22:23], v[118:119]
	v_fma_f64 v[78:79], v[78:79], s[22:23], -v[118:119]
	v_add_f64 v[140:141], v[203:204], v[140:141]
	v_add_f64 v[149:150], v[205:206], v[149:150]
	;; [unrolled: 1-line block ×3, first 2 shown]
	v_mul_f64 v[110:111], v[102:103], s[48:49]
	v_add_f64 v[136:137], v[199:200], v[136:137]
	v_add_f64 v[80:81], v[80:81], v[145:146]
	;; [unrolled: 1-line block ×10, first 2 shown]
	v_mul_f64 v[130:131], v[102:103], s[40:41]
	v_mul_f64 v[153:154], v[102:103], s[34:35]
	;; [unrolled: 1-line block ×5, first 2 shown]
	v_fma_f64 v[163:164], v[76:77], s[8:9], v[128:129]
	v_fma_f64 v[128:129], v[76:77], s[8:9], -v[128:129]
	v_fma_f64 v[189:190], v[76:77], s[16:17], v[167:168]
	v_fma_f64 v[167:168], v[76:77], s[16:17], -v[167:168]
	v_fma_f64 v[191:192], v[76:77], s[6:7], v[169:170]
	v_fma_f64 v[169:170], v[76:77], s[6:7], -v[169:170]
	v_add_f64 v[86:87], v[86:87], -v[173:174]
	v_add_f64 v[108:109], v[28:29], v[116:117]
	v_mul_f64 v[116:117], v[102:103], s[46:47]
	v_mul_f64 v[102:103], v[102:103], s[54:55]
	v_add_f64 v[96:97], v[96:97], -v[120:121]
	v_fma_f64 v[120:121], v[76:77], s[14:15], v[126:127]
	v_fma_f64 v[126:127], v[76:77], s[14:15], -v[126:127]
	v_fma_f64 v[173:174], v[76:77], s[24:25], v[114:115]
	v_fma_f64 v[76:77], v[76:77], s[24:25], -v[114:115]
	v_add_f64 v[20:21], v[112:113], v[20:21]
	v_mul_f64 v[112:113], v[98:99], s[40:41]
	v_add_f64 v[90:91], v[90:91], -v[110:111]
	v_add_f64 v[80:81], v[132:133], v[80:81]
	v_add_f64 v[114:115], v[161:162], v[118:119]
	;; [unrolled: 1-line block ×13, first 2 shown]
	v_mul_f64 v[100:101], v[98:99], s[50:51]
	v_mul_f64 v[145:146], v[98:99], s[48:49]
	;; [unrolled: 1-line block ×5, first 2 shown]
	v_fma_f64 v[110:111], v[10:11], s[18:19], v[130:131]
	v_fma_f64 v[161:162], v[10:11], s[6:7], v[155:156]
	v_fma_f64 v[155:156], v[10:11], s[6:7], -v[155:156]
	v_fma_f64 v[171:172], v[10:11], s[24:25], v[157:158]
	v_fma_f64 v[157:158], v[10:11], s[24:25], -v[157:158]
	v_fma_f64 v[175:176], v[10:11], s[22:23], v[159:160]
	v_fma_f64 v[159:160], v[10:11], s[22:23], -v[159:160]
	v_add_f64 v[94:95], v[24:25], v[108:109]
	v_mul_f64 v[108:109], v[98:99], s[34:35]
	v_mul_f64 v[98:99], v[98:99], s[52:53]
	v_add_f64 v[88:89], v[88:89], -v[116:117]
	v_fma_f64 v[116:117], v[10:11], s[18:19], -v[130:131]
	v_fma_f64 v[130:131], v[10:11], s[8:9], v[153:154]
	v_fma_f64 v[153:154], v[10:11], s[8:9], -v[153:154]
	v_fma_f64 v[177:178], v[10:11], s[20:21], v[102:103]
	v_fma_f64 v[10:11], v[10:11], s[20:21], -v[102:103]
	v_add_f64 v[20:21], v[96:97], v[20:21]
	v_fma_f64 v[96:97], v[0:1], s[18:19], -v[112:113]
	v_add_f64 v[80:81], v[128:129], v[80:81]
	v_add_f64 v[102:103], v[120:121], v[114:115]
	;; [unrolled: 1-line block ×13, first 2 shown]
	v_add_f64 v[84:85], v[84:85], -v[100:101]
	v_fma_f64 v[100:101], v[0:1], s[14:15], v[145:146]
	v_fma_f64 v[134:135], v[0:1], s[20:21], -v[147:148]
	v_fma_f64 v[136:137], v[0:1], s[16:17], v[149:150]
	v_fma_f64 v[138:139], v[0:1], s[16:17], -v[149:150]
	;; [unrolled: 2-line block ×3, first 2 shown]
	v_add_f64 v[92:93], v[16:17], v[94:95]
	v_add_f64 v[82:83], v[82:83], -v[108:109]
	v_fma_f64 v[94:95], v[0:1], s[18:19], v[112:113]
	v_fma_f64 v[108:109], v[0:1], s[14:15], -v[145:146]
	v_fma_f64 v[112:113], v[0:1], s[20:21], v[147:148]
	v_fma_f64 v[145:146], v[0:1], s[22:23], v[98:99]
	v_fma_f64 v[0:1], v[0:1], s[22:23], -v[98:99]
	v_add_f64 v[20:21], v[90:91], v[20:21]
	v_add_f64 v[80:81], v[159:160], v[80:81]
	;; [unrolled: 1-line block ×29, first 2 shown]
	v_mad_u32_u24 v86, 0x88, v142, 0
	v_add_f64 v[84:85], v[6:7], v[88:89]
	ds_store_2addr_b64 v86, v[0:1], v[76:77] offset0:4 offset1:5
	ds_store_2addr_b64 v86, v[98:99], v[80:81] offset0:6 offset1:7
	ds_store_2addr_b64 v86, v[92:93], v[90:91] offset0:8 offset1:9
	ds_store_2addr_b64 v86, v[94:95], v[96:97] offset0:10 offset1:11
	ds_store_2addr_b64 v86, v[10:11], v[100:101] offset0:12 offset1:13
	ds_store_2addr_b64 v86, v[102:103], v[2:3] offset0:14 offset1:15
	ds_store_2addr_b64 v86, v[20:21], v[78:79] offset0:2 offset1:3
	ds_store_2addr_b64 v86, v[84:85], v[82:83] offset1:1
	ds_store_b64 v86, v[4:5] offset:128
.LBB0_13:
	s_or_b32 exec_lo, exec_lo, s1
	v_add_f64 v[140:141], v[48:49], -v[6:7]
	v_add_f64 v[138:139], v[68:69], -v[12:13]
	v_add_f64 v[132:133], v[8:9], v[50:51]
	v_add_f64 v[126:127], v[64:65], -v[16:17]
	v_add_f64 v[124:125], v[14:15], v[70:71]
	v_add_f64 v[116:117], v[18:19], v[66:67]
	v_add_f64 v[122:123], v[60:61], -v[24:25]
	v_add_f64 v[108:109], v[26:27], v[62:63]
	v_add_f64 v[114:115], v[56:57], -v[28:29]
	;; [unrolled: 2-line block ×4, first 2 shown]
	v_add_f64 v[36:37], v[44:45], -v[36:37]
	v_lshl_add_u32 v143, v142, 3, 0
	s_waitcnt lgkmcnt(0)
	s_barrier
	buffer_gl0_inv
	v_add_nc_u32_e32 v144, 0x1400, v143
	v_add_nc_u32_e32 v146, 0x400, v143
	;; [unrolled: 1-line block ×4, first 2 shown]
	v_mul_f64 v[134:135], v[140:141], s[28:29]
	v_mul_f64 v[136:137], v[140:141], s[36:37]
	;; [unrolled: 1-line block ×14, first 2 shown]
	v_fma_f64 v[0:1], v[132:133], s[6:7], -v[134:135]
	v_fma_f64 v[6:7], v[132:133], s[22:23], -v[136:137]
	;; [unrolled: 1-line block ×7, first 2 shown]
	v_add_f64 v[0:1], v[22:23], v[0:1]
	v_add_f64 v[6:7], v[22:23], v[6:7]
	s_delay_alu instid0(VALU_DEP_2) | instskip(NEXT) | instid1(VALU_DEP_2)
	v_add_f64 v[0:1], v[10:11], v[0:1]
	v_add_f64 v[6:7], v[12:13], v[6:7]
	v_fma_f64 v[10:11], v[108:109], s[24:25], -v[110:111]
	v_fma_f64 v[12:13], v[108:109], s[8:9], -v[112:113]
	s_delay_alu instid0(VALU_DEP_4) | instskip(NEXT) | instid1(VALU_DEP_4)
	v_add_f64 v[0:1], v[16:17], v[0:1]
	v_add_f64 v[6:7], v[20:21], v[6:7]
	v_fma_f64 v[20:21], v[60:61], s[18:19], -v[64:65]
	v_add_f64 v[16:17], v[42:43], v[54:55]
	s_delay_alu instid0(VALU_DEP_4) | instskip(NEXT) | instid1(VALU_DEP_4)
	v_add_f64 v[0:1], v[10:11], v[0:1]
	v_add_f64 v[6:7], v[12:13], v[6:7]
	v_fma_f64 v[10:11], v[48:49], s[20:21], -v[40:41]
	v_fma_f64 v[12:13], v[48:49], s[18:19], -v[52:53]
	;; [unrolled: 1-line block ×4, first 2 shown]
	v_add_f64 v[0:1], v[20:21], v[0:1]
	v_add_f64 v[44:45], v[24:25], v[6:7]
	;; [unrolled: 1-line block ×3, first 2 shown]
	v_mul_f64 v[20:21], v[36:37], s[34:35]
	v_mul_f64 v[24:25], v[36:37], s[50:51]
	v_add_f64 v[0:1], v[10:11], v[0:1]
	v_add_f64 v[10:11], v[12:13], v[44:45]
	s_delay_alu instid0(VALU_DEP_4) | instskip(NEXT) | instid1(VALU_DEP_4)
	v_fma_f64 v[12:13], v[6:7], s[8:9], -v[20:21]
	v_fma_f64 v[44:45], v[6:7], s[6:7], -v[24:25]
	s_delay_alu instid0(VALU_DEP_4) | instskip(NEXT) | instid1(VALU_DEP_4)
	v_add_f64 v[0:1], v[76:77], v[0:1]
	v_add_f64 v[10:11], v[78:79], v[10:11]
	s_delay_alu instid0(VALU_DEP_2) | instskip(NEXT) | instid1(VALU_DEP_2)
	v_add_f64 v[12:13], v[12:13], v[0:1]
	v_add_f64 v[10:11], v[44:45], v[10:11]
	v_add_nc_u32_e32 v45, 0x2400, v143
	v_add_nc_u32_e32 v44, 0xc00, v143
	ds_load_2addr_b64 v[80:83], v143 offset1:119
	ds_load_2addr_b64 v[76:79], v44 offset0:92 offset1:211
	ds_load_2addr_b64 v[100:103], v45 offset0:38 offset1:157
	;; [unrolled: 1-line block ×6, first 2 shown]
	ds_load_b64 v[0:1], v143 offset:13328
	s_waitcnt lgkmcnt(0)
	s_barrier
	buffer_gl0_inv
	s_and_saveexec_b32 s33, s0
	s_cbranch_execz .LBB0_15
; %bb.14:
	v_add_f64 v[50:51], v[50:51], v[22:23]
	v_mul_f64 v[150:151], v[108:109], s[24:25]
	s_mov_b32 s42, 0xeb564b22
	s_mov_b32 s43, 0xbfefdd0d
	s_mov_b32 s34, 0x6c9a05f6
	s_mov_b32 s38, 0x4363dd80
	s_mov_b32 s52, 0x7c9e640b
	s_mov_b32 s35, 0xbfe9895b
	s_mov_b32 s39, 0xbfe0d888
	s_mov_b32 s46, 0xacd6c6b4
	s_mov_b32 s53, 0xbfeca52d
	v_mul_f64 v[160:161], v[140:141], s[42:43]
	s_mov_b32 s47, 0xbfc7851a
	v_mul_f64 v[164:165], v[140:141], s[34:35]
	v_mul_f64 v[166:167], v[140:141], s[38:39]
	v_mul_f64 v[158:159], v[140:141], s[52:53]
	s_mov_b32 s26, 0xc61f0d01
	s_mov_b32 s60, 0x5d8e7cdc
	;; [unrolled: 1-line block ×15, first 2 shown]
	v_mul_f64 v[168:169], v[138:139], s[46:47]
	v_mul_f64 v[170:171], v[138:139], s[60:61]
	;; [unrolled: 1-line block ×3, first 2 shown]
	s_mov_b32 s0, 0x2b2883cd
	s_mov_b32 s1, 0x3fdc86fa
	;; [unrolled: 1-line block ×4, first 2 shown]
	v_add_f64 v[50:51], v[70:71], v[50:51]
	v_mul_f64 v[70:71], v[124:125], s[24:25]
	s_mov_b32 s24, 0x923c349f
	s_mov_b32 s25, 0xbfeec746
	;; [unrolled: 1-line block ×3, first 2 shown]
	v_mul_f64 v[162:163], v[140:141], s[24:25]
	v_mul_f64 v[140:141], v[140:141], s[46:47]
	;; [unrolled: 1-line block ×3, first 2 shown]
	s_mov_b32 s41, 0x3fedd6d0
	s_mov_b32 s51, 0x3fc7851a
	;; [unrolled: 1-line block ×5, first 2 shown]
	v_fma_f64 v[178:179], v[132:133], s[28:29], v[164:165]
	v_fma_f64 v[180:181], v[132:133], s[30:31], v[166:167]
	v_fma_f64 v[164:165], v[132:133], s[28:29], -v[164:165]
	v_fma_f64 v[166:167], v[132:133], s[30:31], -v[166:167]
	s_mov_b32 s54, s60
	v_mul_f64 v[148:149], v[116:117], s[20:21]
	v_mul_f64 v[184:185], v[126:127], s[38:39]
	;; [unrolled: 1-line block ×4, first 2 shown]
	s_mov_b32 s50, 0x75d4884
	s_mov_b32 s51, 0x3fe7a5f6
	;; [unrolled: 1-line block ×4, first 2 shown]
	v_mul_f64 v[152:153], v[108:109], s[8:9]
	v_mul_f64 v[198:199], v[122:123], s[48:49]
	;; [unrolled: 1-line block ×5, first 2 shown]
	v_add_f64 v[110:111], v[150:151], v[110:111]
	v_fma_f64 v[190:191], v[124:125], s[40:41], v[170:171]
	v_fma_f64 v[170:171], v[124:125], s[40:41], -v[170:171]
	v_fma_f64 v[192:193], v[124:125], s[30:31], v[172:173]
	v_fma_f64 v[172:173], v[124:125], s[30:31], -v[172:173]
	v_add_f64 v[50:51], v[66:67], v[50:51]
	v_mul_f64 v[66:67], v[124:125], s[22:23]
	v_add_f64 v[70:71], v[70:71], v[130:131]
	v_fma_f64 v[130:131], v[124:125], s[36:37], v[168:169]
	v_fma_f64 v[168:169], v[124:125], s[36:37], -v[168:169]
	v_fma_f64 v[176:177], v[132:133], s[26:27], v[162:163]
	v_fma_f64 v[182:183], v[132:133], s[36:37], v[140:141]
	v_fma_f64 v[140:141], v[132:133], s[36:37], -v[140:141]
	v_fma_f64 v[162:163], v[132:133], s[26:27], -v[162:163]
	v_fma_f64 v[194:195], v[124:125], s[26:27], v[174:175]
	v_fma_f64 v[174:175], v[124:125], s[26:27], -v[174:175]
	v_add_f64 v[164:165], v[22:23], v[164:165]
	v_add_f64 v[166:167], v[22:23], v[166:167]
	v_fma_f64 v[202:203], v[116:117], s[30:31], v[184:185]
	v_fma_f64 v[184:185], v[116:117], s[30:31], -v[184:185]
	v_fma_f64 v[204:205], v[116:117], s[36:37], v[186:187]
	v_fma_f64 v[186:187], v[116:117], s[36:37], -v[186:187]
	;; [unrolled: 2-line block ×3, first 2 shown]
	v_add_f64 v[112:113], v[152:153], v[112:113]
	v_add_f64 v[64:65], v[154:155], v[64:65]
	;; [unrolled: 1-line block ×4, first 2 shown]
	v_mul_f64 v[62:63], v[132:133], s[22:23]
	s_mov_b32 s22, 0x3259b75e
	s_mov_b32 s23, 0x3fb79ee6
	v_add_f64 v[66:67], v[66:67], v[128:129]
	v_add_f64 v[140:141], v[22:23], v[140:141]
	;; [unrolled: 1-line block ×4, first 2 shown]
	v_mul_f64 v[58:59], v[132:133], s[6:7]
	v_add_f64 v[62:63], v[62:63], v[136:137]
	v_fma_f64 v[136:137], v[132:133], s[22:23], v[160:161]
	v_fma_f64 v[160:161], v[132:133], s[22:23], -v[160:161]
	v_add_f64 v[140:141], v[170:171], v[140:141]
	v_add_f64 v[162:163], v[172:173], v[162:163]
	;; [unrolled: 1-line block ×4, first 2 shown]
	v_fma_f64 v[134:135], v[132:133], s[0:1], v[158:159]
	v_fma_f64 v[132:133], v[132:133], s[0:1], -v[158:159]
	v_mul_f64 v[74:75], v[116:117], s[14:15]
	v_mul_f64 v[158:159], v[126:127], s[42:43]
	v_add_f64 v[62:63], v[22:23], v[62:63]
	v_add_f64 v[136:137], v[22:23], v[136:137]
	;; [unrolled: 1-line block ×3, first 2 shown]
	v_mul_f64 v[54:55], v[138:139], s[34:35]
	v_mul_f64 v[138:139], v[138:139], s[44:45]
	v_add_f64 v[58:59], v[22:23], v[58:59]
	v_add_f64 v[134:135], v[22:23], v[134:135]
	;; [unrolled: 1-line block ×4, first 2 shown]
	v_fma_f64 v[148:149], v[116:117], s[22:23], v[158:159]
	v_fma_f64 v[158:159], v[116:117], s[22:23], -v[158:159]
	v_add_f64 v[62:63], v[70:71], v[62:63]
	v_add_f64 v[46:47], v[46:47], v[50:51]
	v_mul_f64 v[50:51], v[126:127], s[48:49]
	v_mul_f64 v[126:127], v[126:127], s[54:55]
	v_fma_f64 v[128:129], v[124:125], s[28:29], v[54:55]
	v_fma_f64 v[54:55], v[124:125], s[28:29], -v[54:55]
	v_fma_f64 v[196:197], v[124:125], s[0:1], v[138:139]
	v_fma_f64 v[124:125], v[124:125], s[0:1], -v[138:139]
	v_add_f64 v[138:139], v[22:23], v[160:161]
	v_add_f64 v[160:161], v[22:23], v[176:177]
	;; [unrolled: 1-line block ×6, first 2 shown]
	v_mul_f64 v[132:133], v[122:123], s[52:53]
	v_add_f64 v[58:59], v[66:67], v[58:59]
	v_add_f64 v[66:67], v[130:131], v[136:137]
	v_mul_f64 v[182:183], v[122:123], s[38:39]
	v_add_f64 v[136:137], v[174:175], v[164:165]
	v_mul_f64 v[164:165], v[114:115], s[46:47]
	v_add_f64 v[62:63], v[118:119], v[62:63]
	v_fma_f64 v[174:175], v[108:109], s[50:51], v[198:199]
	v_add_f64 v[38:39], v[38:39], v[46:47]
	v_mul_f64 v[46:47], v[122:123], s[60:61]
	v_fma_f64 v[120:121], v[116:117], s[50:51], v[50:51]
	v_fma_f64 v[50:51], v[116:117], s[50:51], -v[50:51]
	v_fma_f64 v[208:209], v[116:117], s[40:41], v[126:127]
	v_fma_f64 v[116:117], v[116:117], s[40:41], -v[126:127]
	v_mul_f64 v[122:123], v[122:123], s[56:57]
	v_add_f64 v[70:71], v[168:169], v[138:139]
	v_add_f64 v[126:127], v[192:193], v[160:161]
	;; [unrolled: 1-line block ×7, first 2 shown]
	v_mul_f64 v[54:55], v[48:49], s[20:21]
	s_mov_b32 s21, 0x3fefdd0d
	s_mov_b32 s20, s42
	v_fma_f64 v[152:153], v[108:109], s[0:1], v[132:133]
	v_add_f64 v[58:59], v[74:75], v[58:59]
	v_add_f64 v[66:67], v[206:207], v[66:67]
	v_mul_f64 v[166:167], v[114:115], s[34:35]
	v_mul_f64 v[168:169], v[114:115], s[20:21]
	v_fma_f64 v[170:171], v[108:109], s[30:31], v[182:183]
	v_fma_f64 v[172:173], v[108:109], s[30:31], -v[182:183]
	v_fma_f64 v[132:133], v[108:109], s[0:1], -v[132:133]
	;; [unrolled: 1-line block ×3, first 2 shown]
	v_fma_f64 v[178:179], v[108:109], s[26:27], v[200:201]
	v_fma_f64 v[180:181], v[108:109], s[26:27], -v[200:201]
	v_add_f64 v[62:63], v[112:113], v[62:63]
	v_add_f64 v[38:39], v[42:43], v[38:39]
	;; [unrolled: 1-line block ×3, first 2 shown]
	v_mul_f64 v[134:135], v[114:115], s[52:53]
	v_fma_f64 v[150:151], v[108:109], s[40:41], v[46:47]
	v_fma_f64 v[46:47], v[108:109], s[40:41], -v[46:47]
	v_mul_f64 v[128:129], v[114:115], s[48:49]
	v_mul_f64 v[114:115], v[114:115], s[54:55]
	v_add_f64 v[70:71], v[188:189], v[70:71]
	v_add_f64 v[74:75], v[120:121], v[126:127]
	v_fma_f64 v[182:183], v[108:109], s[28:29], v[122:123]
	v_add_f64 v[118:119], v[208:209], v[130:131]
	v_add_f64 v[120:121], v[148:149], v[138:139]
	v_fma_f64 v[108:109], v[108:109], s[28:29], -v[122:123]
	v_add_f64 v[116:117], v[116:117], v[136:137]
	v_add_f64 v[122:123], v[202:203], v[160:161]
	;; [unrolled: 1-line block ×6, first 2 shown]
	v_mul_f64 v[130:131], v[72:73], s[38:39]
	v_mul_f64 v[140:141], v[72:73], s[20:21]
	v_fma_f64 v[158:159], v[60:61], s[36:37], v[164:165]
	v_add_f64 v[58:59], v[110:111], v[58:59]
	v_mul_f64 v[136:137], v[72:73], s[46:47]
	v_mul_f64 v[138:139], v[72:73], s[54:55]
	v_fma_f64 v[160:161], v[60:61], s[36:37], -v[164:165]
	v_fma_f64 v[162:163], v[60:61], s[28:29], v[166:167]
	v_fma_f64 v[164:165], v[60:61], s[28:29], -v[166:167]
	v_fma_f64 v[166:167], v[60:61], s[22:23], v[168:169]
	v_fma_f64 v[168:169], v[60:61], s[22:23], -v[168:169]
	v_add_f64 v[40:41], v[54:55], v[40:41]
	v_add_f64 v[62:63], v[68:69], v[62:63]
	;; [unrolled: 1-line block ×4, first 2 shown]
	v_mul_f64 v[42:43], v[48:49], s[18:19]
	s_mov_b32 s19, 0xbfe58eea
	s_mov_b32 s18, s48
	v_fma_f64 v[156:157], v[60:61], s[0:1], v[134:135]
	v_fma_f64 v[134:135], v[60:61], s[0:1], -v[134:135]
	v_add_f64 v[66:67], v[150:151], v[66:67]
	v_add_f64 v[46:47], v[46:47], v[70:71]
	;; [unrolled: 1-line block ×3, first 2 shown]
	v_mul_f64 v[148:149], v[72:73], s[18:19]
	v_mul_f64 v[72:73], v[72:73], s[44:45]
	v_fma_f64 v[184:185], v[60:61], s[40:41], v[114:115]
	v_add_f64 v[74:75], v[170:171], v[118:119]
	v_add_f64 v[112:113], v[182:183], v[120:121]
	v_fma_f64 v[154:155], v[60:61], s[50:51], v[128:129]
	v_fma_f64 v[128:129], v[60:61], s[50:51], -v[128:129]
	v_fma_f64 v[60:61], v[60:61], s[40:41], -v[114:115]
	v_add_f64 v[110:111], v[172:173], v[116:117]
	v_add_f64 v[114:115], v[174:175], v[122:123]
	;; [unrolled: 1-line block ×6, first 2 shown]
	v_mul_f64 v[118:119], v[16:17], s[14:15]
	v_mul_f64 v[120:121], v[56:57], s[42:43]
	;; [unrolled: 1-line block ×7, first 2 shown]
	v_fma_f64 v[54:55], v[48:49], s[30:31], -v[130:131]
	v_fma_f64 v[152:153], v[48:49], s[22:23], v[140:141]
	v_add_f64 v[58:59], v[64:65], v[58:59]
	v_fma_f64 v[150:151], v[48:49], s[40:41], v[138:139]
	v_fma_f64 v[138:139], v[48:49], s[40:41], -v[138:139]
	v_fma_f64 v[140:141], v[48:49], s[22:23], -v[140:141]
	v_add_f64 v[30:31], v[30:31], v[34:35]
	v_add_f64 v[34:35], v[178:179], v[38:39]
	;; [unrolled: 1-line block ×3, first 2 shown]
	v_fma_f64 v[52:53], v[48:49], s[30:31], v[130:131]
	v_mul_f64 v[38:39], v[16:17], s[16:17]
	v_fma_f64 v[130:131], v[48:49], s[36:37], v[136:137]
	v_fma_f64 v[136:137], v[48:49], s[36:37], -v[136:137]
	v_add_f64 v[64:65], v[156:157], v[66:67]
	v_add_f64 v[46:47], v[134:135], v[46:47]
	;; [unrolled: 1-line block ×3, first 2 shown]
	v_fma_f64 v[170:171], v[48:49], s[50:51], v[148:149]
	v_fma_f64 v[148:149], v[48:49], s[50:51], -v[148:149]
	v_fma_f64 v[172:173], v[48:49], s[0:1], v[72:73]
	v_fma_f64 v[48:49], v[48:49], s[0:1], -v[72:73]
	v_add_f64 v[68:69], v[166:167], v[74:75]
	v_add_f64 v[72:73], v[184:185], v[112:113]
	v_mul_f64 v[112:113], v[36:37], s[38:39]
	v_mul_f64 v[134:135], v[36:37], s[44:45]
	v_add_f64 v[70:71], v[168:169], v[110:111]
	v_add_f64 v[74:75], v[162:163], v[114:115]
	v_add_f64 v[110:111], v[164:165], v[116:117]
	v_add_f64 v[60:61], v[60:61], v[108:109]
	v_add_f64 v[50:51], v[160:161], v[50:51]
	v_add_f64 v[22:23], v[128:129], v[22:23]
	v_mul_f64 v[108:109], v[6:7], s[6:7]
	v_mul_f64 v[114:115], v[36:37], s[48:49]
	;; [unrolled: 1-line block ×5, first 2 shown]
	v_add_f64 v[32:33], v[118:119], v[32:33]
	v_fma_f64 v[158:159], v[16:17], s[28:29], v[132:133]
	v_fma_f64 v[160:161], v[16:17], s[40:41], v[56:57]
	v_fma_f64 v[118:119], v[16:17], s[22:23], -v[120:121]
	v_fma_f64 v[156:157], v[16:17], s[26:27], v[126:127]
	v_fma_f64 v[126:127], v[16:17], s[26:27], -v[126:127]
	v_fma_f64 v[132:133], v[16:17], s[28:29], -v[132:133]
	v_add_f64 v[40:41], v[40:41], v[58:59]
	v_add_f64 v[26:27], v[26:27], v[30:31]
	;; [unrolled: 1-line block ×3, first 2 shown]
	v_mul_f64 v[34:35], v[6:7], s[8:9]
	v_add_f64 v[42:43], v[42:43], v[62:63]
	v_add_f64 v[28:29], v[38:39], v[28:29]
	v_fma_f64 v[38:39], v[16:17], s[22:23], v[120:121]
	v_fma_f64 v[120:121], v[16:17], s[36:37], v[122:123]
	v_add_f64 v[52:53], v[52:53], v[64:65]
	v_add_f64 v[46:47], v[54:55], v[46:47]
	;; [unrolled: 1-line block ×3, first 2 shown]
	v_fma_f64 v[122:123], v[16:17], s[36:37], -v[122:123]
	v_fma_f64 v[154:155], v[16:17], s[50:51], v[124:125]
	v_fma_f64 v[124:125], v[16:17], s[50:51], -v[124:125]
	v_fma_f64 v[16:17], v[16:17], s[40:41], -v[56:57]
	v_add_f64 v[56:57], v[170:171], v[68:69]
	v_add_f64 v[62:63], v[130:131], v[72:73]
	;; [unrolled: 1-line block ×9, first 2 shown]
	v_fma_f64 v[66:67], v[6:7], s[50:51], v[114:115]
	v_fma_f64 v[68:69], v[6:7], s[50:51], -v[114:115]
	v_fma_f64 v[70:71], v[6:7], s[28:29], v[116:117]
	v_fma_f64 v[72:73], v[6:7], s[28:29], -v[116:117]
	;; [unrolled: 2-line block ×3, first 2 shown]
	v_fma_f64 v[110:111], v[6:7], s[0:1], v[134:135]
	v_fma_f64 v[114:115], v[6:7], s[22:23], v[36:37]
	v_add_f64 v[18:19], v[18:19], v[26:27]
	v_add_f64 v[26:27], v[150:151], v[30:31]
	;; [unrolled: 1-line block ×3, first 2 shown]
	v_fma_f64 v[30:31], v[6:7], s[30:31], v[112:113]
	v_fma_f64 v[34:35], v[6:7], s[30:31], -v[112:113]
	v_fma_f64 v[112:113], v[6:7], s[0:1], -v[134:135]
	;; [unrolled: 1-line block ×3, first 2 shown]
	v_add_f64 v[32:33], v[32:33], v[42:43]
	v_add_f64 v[36:37], v[158:159], v[52:53]
	;; [unrolled: 1-line block ×30, first 2 shown]
	v_lshl_add_u32 v18, v142, 7, v143
	ds_store_2addr_b64 v18, v[26:27], v[32:33] offset0:4 offset1:5
	ds_store_2addr_b64 v18, v[36:37], v[40:41] offset0:6 offset1:7
	;; [unrolled: 1-line block ×6, first 2 shown]
	ds_store_2addr_b64 v18, v[8:9], v[20:21] offset1:1
	ds_store_2addr_b64 v18, v[24:25], v[14:15] offset0:2 offset1:3
	ds_store_b64 v18, v[12:13] offset:128
.LBB0_15:
	s_or_b32 exec_lo, exec_lo, s33
	v_add_nc_u32_e32 v109, 0x77, v142
	v_and_b32_e32 v128, 0xff, v142
	v_add_nc_u32_e32 v108, 0xee, v142
	v_add_nc_u32_e32 v6, 0x165, v142
	;; [unrolled: 1-line block ×3, first 2 shown]
	v_and_b32_e32 v129, 0xff, v109
	v_mul_lo_u16 v8, 0xf1, v128
	v_and_b32_e32 v130, 0xffff, v108
	v_and_b32_e32 v14, 0xffff, v6
	s_load_b64 s[2:3], s[2:3], 0x0
	v_mul_lo_u16 v9, 0xf1, v129
	v_lshrrev_b16 v131, 12, v8
	v_and_b32_e32 v8, 0xffff, v7
	v_mul_u32_u24_e32 v14, 0xf0f1, v14
	s_waitcnt lgkmcnt(0)
	v_lshrrev_b16 v132, 12, v9
	v_mul_u32_u24_e32 v9, 0xf0f1, v130
	v_mul_lo_u16 v15, v131, 17
	v_mul_u32_u24_e32 v8, 0xf0f1, v8
	v_lshrrev_b32_e32 v134, 20, v14
	v_mul_lo_u16 v16, v132, 17
	v_lshrrev_b32_e32 v133, 20, v9
	v_sub_nc_u16 v9, v142, v15
	v_lshrrev_b32_e32 v135, 20, v8
	v_mul_lo_u16 v15, v134, 17
	v_sub_nc_u16 v14, v109, v16
	v_mul_lo_u16 v8, v133, 17
	v_and_b32_e32 v136, 0xff, v9
	v_mul_lo_u16 v9, v135, 17
	v_sub_nc_u16 v6, v6, v15
	v_and_b32_e32 v137, 0xff, v14
	v_sub_nc_u16 v8, v108, v8
	v_lshlrev_b32_e32 v14, 5, v136
	v_sub_nc_u16 v18, v7, v9
	s_barrier
	v_lshlrev_b32_e32 v22, 5, v137
	v_and_b32_e32 v138, 0xffff, v8
	buffer_gl0_inv
	v_and_b32_e32 v139, 0xffff, v6
	s_clause 0x1
	global_load_b128 v[6:9], v14, s[4:5] offset:16
	global_load_b128 v[14:17], v14, s[4:5]
	v_and_b32_e32 v140, 0xffff, v18
	s_clause 0x1
	global_load_b128 v[18:21], v22, s[4:5] offset:16
	global_load_b128 v[22:25], v22, s[4:5]
	v_lshlrev_b32_e32 v30, 5, v138
	v_lshlrev_b32_e32 v38, 5, v139
	s_mov_b32 s0, 0xe8584caa
	v_lshlrev_b32_e32 v42, 5, v140
	s_clause 0x5
	global_load_b128 v[26:29], v30, s[4:5]
	global_load_b128 v[30:33], v30, s[4:5] offset:16
	global_load_b128 v[34:37], v38, s[4:5]
	global_load_b128 v[38:41], v38, s[4:5] offset:16
	global_load_b128 v[46:49], v42, s[4:5]
	global_load_b128 v[50:53], v42, s[4:5] offset:16
	ds_load_2addr_b64 v[54:57], v44 offset0:92 offset1:211
	ds_load_2addr_b64 v[58:61], v45 offset0:38 offset1:157
	;; [unrolled: 1-line block ×5, first 2 shown]
	ds_load_b64 v[42:43], v143 offset:13328
	s_mov_b32 s1, 0x3febb67a
	s_mov_b32 s7, 0xbfebb67a
	;; [unrolled: 1-line block ×10, first 2 shown]
	s_waitcnt vmcnt(9) lgkmcnt(4)
	v_mul_f64 v[110:111], v[58:59], v[8:9]
	s_waitcnt vmcnt(8)
	v_mul_f64 v[74:75], v[56:57], v[16:17]
	v_mul_f64 v[16:17], v[78:79], v[16:17]
	;; [unrolled: 1-line block ×3, first 2 shown]
	s_waitcnt vmcnt(6) lgkmcnt(3)
	v_mul_f64 v[112:113], v[62:63], v[24:25]
	v_mul_f64 v[114:115], v[60:61], v[20:21]
	;; [unrolled: 1-line block ×4, first 2 shown]
	s_waitcnt vmcnt(5)
	v_mul_f64 v[116:117], v[64:65], v[28:29]
	s_waitcnt vmcnt(4) lgkmcnt(2)
	v_mul_f64 v[118:119], v[66:67], v[32:33]
	v_mul_f64 v[28:29], v[98:99], v[28:29]
	;; [unrolled: 1-line block ×3, first 2 shown]
	s_waitcnt vmcnt(3) lgkmcnt(1)
	v_mul_f64 v[120:121], v[70:71], v[36:37]
	s_waitcnt vmcnt(2)
	v_mul_f64 v[122:123], v[68:69], v[40:41]
	v_mul_f64 v[36:37], v[88:89], v[36:37]
	;; [unrolled: 1-line block ×3, first 2 shown]
	s_waitcnt vmcnt(1)
	v_mul_f64 v[124:125], v[72:73], v[48:49]
	s_waitcnt vmcnt(0) lgkmcnt(0)
	v_mul_f64 v[126:127], v[42:43], v[52:53]
	v_mul_f64 v[48:49], v[90:91], v[48:49]
	;; [unrolled: 1-line block ×3, first 2 shown]
	v_fma_f64 v[74:75], v[78:79], v[14:15], -v[74:75]
	v_fma_f64 v[78:79], v[100:101], v[6:7], -v[110:111]
	v_fma_f64 v[56:57], v[56:57], v[14:15], v[16:17]
	v_fma_f64 v[7:8], v[58:59], v[6:7], v[8:9]
	v_fma_f64 v[96:97], v[96:97], v[22:23], -v[112:113]
	v_fma_f64 v[100:101], v[102:103], v[18:19], -v[114:115]
	v_fma_f64 v[22:23], v[62:63], v[22:23], v[24:25]
	v_fma_f64 v[24:25], v[60:61], v[18:19], v[20:21]
	;; [unrolled: 4-line block ×5, first 2 shown]
	v_mul_lo_u16 v6, 0xa1, v128
	v_mul_lo_u16 v9, 0xa1, v129
	v_mul_u32_u24_e32 v50, 0xa0a1, v130
	v_and_b32_e32 v51, 0xffff, v131
	ds_load_2addr_b64 v[14:17], v143 offset1:119
	v_lshrrev_b16 v6, 13, v6
	v_lshrrev_b16 v164, 13, v9
	v_lshrrev_b32_e32 v165, 21, v50
	v_mul_u32_u24_e32 v9, 0x198, v51
	ds_load_2addr_b64 v[18:21], v146 offset0:110 offset1:229
	v_mul_lo_u16 v52, v6, 51
	v_mul_lo_u16 v114, v164, 51
	;; [unrolled: 1-line block ×3, first 2 shown]
	v_and_b32_e32 v110, 0xffff, v132
	v_mul_u32_u24_e32 v111, 0x198, v133
	v_sub_nc_u16 v113, v142, v52
	v_mul_u32_u24_e32 v112, 0x198, v134
	v_mul_u32_u24_e32 v116, 0x198, v135
	v_add_f64 v[62:63], v[80:81], v[74:75]
	v_add_f64 v[38:39], v[74:75], v[78:79]
	v_add_f64 v[74:75], v[74:75], -v[78:79]
	v_add_f64 v[50:51], v[56:57], v[7:8]
	v_add_f64 v[66:67], v[56:57], -v[7:8]
	v_add_f64 v[40:41], v[96:97], v[100:101]
	v_add_f64 v[68:69], v[82:83], v[96:97]
	;; [unrolled: 1-line block ×5, first 2 shown]
	s_waitcnt lgkmcnt(1)
	v_add_f64 v[56:57], v[14:15], v[56:57]
	v_add_f64 v[58:59], v[26:27], v[28:29]
	;; [unrolled: 1-line block ×4, first 2 shown]
	v_and_b32_e32 v166, 0xff, v113
	v_add_f64 v[60:61], v[30:31], v[32:33]
	v_add_f64 v[102:103], v[76:77], v[90:91]
	;; [unrolled: 1-line block ×3, first 2 shown]
	v_lshlrev_b32_e32 v113, 3, v136
	v_add_f64 v[64:65], v[34:35], v[36:37]
	v_mul_u32_u24_e32 v110, 0x198, v110
	s_waitcnt lgkmcnt(0)
	s_barrier
	v_add3_u32 v9, 0, v9, v113
	buffer_gl0_inv
	v_and_b32_e32 v6, 0xffff, v6
	s_delay_alu instid0(VALU_DEP_1)
	v_mul_u32_u24_e32 v6, 0x7f8, v6
	v_add_f64 v[62:63], v[62:63], v[78:79]
	v_fma_f64 v[38:39], v[38:39], -0.5, v[80:81]
	v_add_f64 v[80:81], v[22:23], -v[24:25]
	v_fma_f64 v[14:15], v[50:51], -0.5, v[14:15]
	v_add_f64 v[22:23], v[16:17], v[22:23]
	v_fma_f64 v[40:41], v[40:41], -0.5, v[82:83]
	v_add_f64 v[50:51], v[96:97], -v[100:101]
	v_fma_f64 v[16:17], v[52:53], -0.5, v[16:17]
	v_add_f64 v[82:83], v[26:27], -v[28:29]
	v_fma_f64 v[42:43], v[42:43], -0.5, v[84:85]
	v_add_f64 v[26:27], v[18:19], v[26:27]
	v_add_f64 v[52:53], v[98:99], -v[92:93]
	v_fma_f64 v[18:19], v[58:59], -0.5, v[18:19]
	v_add_f64 v[84:85], v[30:31], -v[32:33]
	v_fma_f64 v[46:47], v[46:47], -0.5, v[86:87]
	v_add_f64 v[30:31], v[20:21], v[30:31]
	;; [unrolled: 5-line block ×3, first 2 shown]
	v_add_f64 v[60:61], v[90:91], -v[0:1]
	v_fma_f64 v[54:55], v[64:65], -0.5, v[54:55]
	v_sub_nc_u16 v76, v109, v114
	v_sub_nc_u16 v77, v108, v115
	v_add_f64 v[64:65], v[68:69], v[100:101]
	v_add_f64 v[68:69], v[70:71], v[92:93]
	v_add_f64 v[70:71], v[72:73], v[94:95]
	v_add_f64 v[7:8], v[56:57], v[7:8]
	v_and_b32_e32 v167, 0xff, v76
	v_and_b32_e32 v168, 0xffff, v77
	v_add_f64 v[0:1], v[102:103], v[0:1]
	v_lshlrev_b32_e32 v94, 3, v137
	v_lshlrev_b32_e32 v95, 3, v138
	;; [unrolled: 1-line block ×6, first 2 shown]
	v_fma_f64 v[72:73], v[66:67], s[0:1], v[38:39]
	v_fma_f64 v[38:39], v[66:67], s[6:7], v[38:39]
	;; [unrolled: 1-line block ×5, first 2 shown]
	v_add_f64 v[56:57], v[22:23], v[24:25]
	v_fma_f64 v[74:75], v[50:51], s[6:7], v[16:17]
	v_fma_f64 v[40:41], v[80:81], s[6:7], v[40:41]
	;; [unrolled: 1-line block ×5, first 2 shown]
	v_add_f64 v[82:83], v[26:27], v[28:29]
	v_fma_f64 v[50:51], v[52:53], s[6:7], v[18:19]
	v_fma_f64 v[52:53], v[52:53], s[0:1], v[18:19]
	;; [unrolled: 1-line block ×4, first 2 shown]
	v_add_f64 v[84:85], v[30:31], v[32:33]
	v_fma_f64 v[90:91], v[58:59], s[6:7], v[20:21]
	v_fma_f64 v[58:59], v[58:59], s[0:1], v[20:21]
	;; [unrolled: 1-line block ×4, first 2 shown]
	v_add_f64 v[86:87], v[34:35], v[36:37]
	v_fma_f64 v[92:93], v[60:61], s[6:7], v[54:55]
	v_fma_f64 v[54:55], v[60:61], s[0:1], v[54:55]
	v_add3_u32 v60, 0, v110, v94
	v_add3_u32 v61, 0, v111, v95
	;; [unrolled: 1-line block ×4, first 2 shown]
	s_mov_b32 s6, 0x134454ff
	s_mov_b32 s7, 0x3fee6f0e
	;; [unrolled: 1-line block ×3, first 2 shown]
	v_cmp_gt_u32_e64 s0, 17, v142
	ds_store_2addr_b64 v9, v[62:63], v[72:73] offset1:17
	ds_store_b64 v9, v[38:39] offset:272
	ds_store_2addr_b64 v60, v[64:65], v[66:67] offset1:17
	ds_store_b64 v60, v[40:41] offset:272
	;; [unrolled: 2-line block ×5, first 2 shown]
	s_waitcnt lgkmcnt(0)
	s_barrier
	buffer_gl0_inv
	ds_load_2addr_b64 v[18:21], v143 offset1:119
	ds_load_2addr_b64 v[22:25], v146 offset0:110 offset1:229
	ds_load_2addr_b64 v[26:29], v144 offset0:74 offset1:193
	;; [unrolled: 1-line block ×6, first 2 shown]
	ds_load_b64 v[0:1], v143 offset:13328
	s_waitcnt lgkmcnt(0)
	s_barrier
	buffer_gl0_inv
	ds_store_2addr_b64 v9, v[7:8], v[88:89] offset1:17
	ds_store_b64 v9, v[14:15] offset:272
	ds_store_2addr_b64 v60, v[56:57], v[74:75] offset1:17
	ds_store_b64 v60, v[16:17] offset:272
	;; [unrolled: 2-line block ×5, first 2 shown]
	s_waitcnt lgkmcnt(0)
	s_barrier
	buffer_gl0_inv
	s_clause 0x3
	global_load_b128 v[50:53], v114, s[4:5] offset:560
	global_load_b128 v[54:57], v114, s[4:5] offset:544
	;; [unrolled: 1-line block ×4, first 2 shown]
	v_lshlrev_b32_e32 v7, 6, v168
	s_clause 0x7
	global_load_b128 v[80:83], v98, s[4:5] offset:544
	global_load_b128 v[84:87], v98, s[4:5] offset:560
	;; [unrolled: 1-line block ×8, first 2 shown]
	ds_load_2addr_b64 v[14:17], v146 offset0:110 offset1:229
	ds_load_2addr_b64 v[126:129], v144 offset0:74 offset1:193
	;; [unrolled: 1-line block ×6, first 2 shown]
	ds_load_b64 v[42:43], v143 offset:13328
	s_waitcnt vmcnt(7) lgkmcnt(2)
	v_mul_f64 v[72:73], v[138:139], v[82:83]
	s_waitcnt vmcnt(6)
	v_mul_f64 v[74:75], v[128:129], v[86:87]
	v_mul_f64 v[58:59], v[126:127], v[52:53]
	;; [unrolled: 1-line block ×5, first 2 shown]
	s_waitcnt vmcnt(5) lgkmcnt(1)
	v_mul_f64 v[76:77], v[148:149], v[96:97]
	s_waitcnt vmcnt(4)
	v_mul_f64 v[88:89], v[136:137], v[100:101]
	s_waitcnt vmcnt(2)
	;; [unrolled: 2-line block ×3, first 2 shown]
	v_mul_f64 v[152:153], v[150:151], v[120:121]
	v_mul_f64 v[90:91], v[140:141], v[112:113]
	s_waitcnt vmcnt(0) lgkmcnt(0)
	v_mul_f64 v[154:155], v[42:43], v[124:125]
	v_mul_f64 v[56:57], v[24:25], v[56:57]
	;; [unrolled: 1-line block ×13, first 2 shown]
	v_fma_f64 v[66:67], v[28:29], v[84:85], -v[74:75]
	v_fma_f64 v[82:83], v[26:27], v[50:51], -v[58:59]
	;; [unrolled: 1-line block ×12, first 2 shown]
	v_fma_f64 v[62:63], v[16:17], v[54:55], v[56:57]
	v_fma_f64 v[8:9], v[134:135], v[60:61], v[158:159]
	;; [unrolled: 1-line block ×12, first 2 shown]
	v_and_b32_e32 v7, 0xffff, v164
	s_delay_alu instid0(VALU_DEP_1)
	v_mul_u32_u24_e32 v7, 0x7f8, v7
	v_add_f64 v[32:33], v[18:19], v[78:79]
	v_add_f64 v[16:17], v[78:79], v[92:93]
	;; [unrolled: 1-line block ×6, first 2 shown]
	v_add_f64 v[48:49], v[92:93], -v[86:87]
	v_add_f64 v[28:29], v[68:69], v[76:77]
	v_add_f64 v[40:41], v[22:23], v[74:75]
	v_add_f64 v[30:31], v[74:75], v[90:91]
	v_add_f64 v[50:51], v[82:83], -v[78:79]
	v_add_f64 v[34:35], v[62:63], -v[8:9]
	;; [unrolled: 1-line block ×14, first 2 shown]
	v_add_f64 v[32:33], v[32:33], v[82:83]
	v_fma_f64 v[16:17], v[16:17], -0.5, v[18:19]
	v_fma_f64 v[0:1], v[0:1], -0.5, v[18:19]
	v_add_f64 v[18:19], v[60:61], -v[56:57]
	v_fma_f64 v[24:25], v[24:25], -0.5, v[20:21]
	v_fma_f64 v[20:21], v[26:27], -0.5, v[20:21]
	v_add_f64 v[26:27], v[96:97], -v[98:99]
	v_fma_f64 v[28:29], v[28:29], -0.5, v[22:23]
	v_add_f64 v[38:39], v[38:39], v[66:67]
	v_fma_f64 v[22:23], v[30:31], -0.5, v[22:23]
	v_add_f64 v[30:31], v[78:79], -v[82:83]
	v_add_f64 v[40:41], v[40:41], v[68:69]
	v_add_f64 v[32:33], v[32:33], v[86:87]
	v_fma_f64 v[124:125], v[36:37], s[8:9], v[16:17]
	v_fma_f64 v[122:123], v[34:35], s[6:7], v[0:1]
	;; [unrolled: 1-line block ×12, first 2 shown]
	v_add_f64 v[30:31], v[30:31], v[48:49]
	v_add_f64 v[48:49], v[50:51], v[80:81]
	;; [unrolled: 1-line block ×8, first 2 shown]
	v_fma_f64 v[110:111], v[36:37], s[14:15], v[122:123]
	v_fma_f64 v[0:1], v[36:37], s[16:17], v[0:1]
	;; [unrolled: 1-line block ×12, first 2 shown]
	v_add_f64 v[28:29], v[32:33], v[92:93]
	v_add_f64 v[32:33], v[38:39], v[88:89]
	;; [unrolled: 1-line block ×3, first 2 shown]
	v_fma_f64 v[40:41], v[30:31], s[18:19], v[110:111]
	v_fma_f64 v[30:31], v[30:31], s[18:19], v[0:1]
	;; [unrolled: 1-line block ×12, first 2 shown]
	v_lshlrev_b32_e32 v25, 3, v166
	v_lshlrev_b32_e32 v26, 3, v167
	v_mul_u32_u24_e32 v24, 0x7f8, v165
	v_lshlrev_b32_e32 v27, 3, v168
                                        ; implicit-def: $vgpr80_vgpr81
	s_delay_alu instid0(VALU_DEP_4) | instskip(NEXT) | instid1(VALU_DEP_4)
	v_add3_u32 v102, 0, v6, v25
	v_add3_u32 v101, 0, v7, v26
	s_delay_alu instid0(VALU_DEP_3)
	v_add3_u32 v100, 0, v24, v27
	ds_load_2addr_b64 v[24:27], v143 offset1:119
	s_waitcnt lgkmcnt(0)
	s_barrier
	buffer_gl0_inv
	ds_store_2addr_b64 v102, v[28:29], v[40:41] offset1:51
	ds_store_2addr_b64 v102, v[36:37], v[16:17] offset0:102 offset1:153
	ds_store_b64 v102, v[30:31] offset:1632
	ds_store_2addr_b64 v101, v[32:33], v[34:35] offset1:51
	ds_store_2addr_b64 v101, v[46:47], v[20:21] offset0:102 offset1:153
	ds_store_b64 v101, v[18:19] offset:1632
	;; [unrolled: 3-line block ×3, first 2 shown]
	s_waitcnt lgkmcnt(0)
	s_barrier
	buffer_gl0_inv
	ds_load_2addr_b64 v[20:23], v143 offset1:119
	ds_load_2addr_b64 v[36:39], v146 offset0:127 offset1:246
	ds_load_2addr_b64 v[40:43], v44 offset0:126 offset1:245
	;; [unrolled: 1-line block ×6, first 2 shown]
                                        ; implicit-def: $vgpr18_vgpr19
	s_and_saveexec_b32 s1, s0
	s_cbranch_execz .LBB0_17
; %bb.16:
	v_add_nc_u32_e32 v0, 0x770, v143
	v_add_nc_u32_e32 v4, 0x1760, v143
	;; [unrolled: 1-line block ×3, first 2 shown]
	ds_load_2addr_b64 v[0:3], v0 offset1:255
	ds_load_2addr_b64 v[4:7], v4 offset1:255
	;; [unrolled: 1-line block ×3, first 2 shown]
	ds_load_b64 v[80:81], v143 offset:14144
.LBB0_17:
	s_or_b32 exec_lo, exec_lo, s1
	v_add_f64 v[110:111], v[58:59], v[54:55]
	v_add_f64 v[112:113], v[62:63], v[8:9]
	;; [unrolled: 1-line block ×7, first 2 shown]
	v_add_f64 v[78:79], v[78:79], -v[92:93]
	v_add_f64 v[82:83], v[82:83], -v[86:87]
	v_add_f64 v[86:87], v[26:27], v[64:65]
	v_add_f64 v[92:93], v[14:15], v[84:85]
	v_add_f64 v[70:71], v[70:71], -v[88:89]
	v_add_f64 v[66:67], v[66:67], -v[72:73]
	v_add_f64 v[74:75], v[74:75], -v[90:91]
	v_add_f64 v[68:69], v[68:69], -v[76:77]
	v_add_f64 v[88:89], v[62:63], -v[58:59]
	v_add_f64 v[90:91], v[8:9], -v[54:55]
	v_add_f64 v[62:63], v[58:59], -v[62:63]
	v_add_f64 v[124:125], v[94:95], -v[98:99]
	v_add_f64 v[126:127], v[98:99], -v[94:95]
	s_waitcnt lgkmcnt(0)
	s_barrier
	buffer_gl0_inv
	v_fma_f64 v[110:111], v[110:111], -0.5, v[24:25]
	v_fma_f64 v[24:25], v[112:113], -0.5, v[24:25]
	;; [unrolled: 1-line block ×6, first 2 shown]
	v_add_f64 v[114:115], v[64:65], -v[60:61]
	v_add_f64 v[64:65], v[60:61], -v[64:65]
	v_add_f64 v[58:59], v[122:123], v[58:59]
	v_add_f64 v[60:61], v[86:87], v[60:61]
	;; [unrolled: 1-line block ×3, first 2 shown]
	v_add_f64 v[112:113], v[54:55], -v[8:9]
	v_add_f64 v[120:121], v[84:85], -v[96:97]
	;; [unrolled: 1-line block ×5, first 2 shown]
	v_add_f64 v[88:89], v[88:89], v[90:91]
	v_fma_f64 v[92:93], v[78:79], s[8:9], v[110:111]
	v_fma_f64 v[96:97], v[78:79], s[6:7], v[110:111]
	;; [unrolled: 1-line block ×12, first 2 shown]
	v_add_f64 v[54:55], v[58:59], v[54:55]
	v_add_f64 v[56:57], v[60:61], v[56:57]
	v_add_f64 v[58:59], v[86:87], v[98:99]
	v_add_f64 v[62:63], v[62:63], v[112:113]
	v_add_f64 v[90:91], v[114:115], v[116:117]
	v_add_f64 v[64:65], v[64:65], v[118:119]
	v_add_f64 v[112:113], v[120:121], v[124:125]
	v_add_f64 v[84:85], v[84:85], v[126:127]
	v_fma_f64 v[60:61], v[82:83], s[16:17], v[92:93]
	v_fma_f64 v[82:83], v[82:83], s[14:15], v[96:97]
	;; [unrolled: 1-line block ×12, first 2 shown]
	v_add_f64 v[54:55], v[54:55], v[8:9]
	v_add_f64 v[52:53], v[56:57], v[52:53]
	;; [unrolled: 1-line block ×3, first 2 shown]
	v_add_nc_u32_e32 v76, 0x1400, v143
	v_add_nc_u32_e32 v77, 0x1c00, v143
	v_fma_f64 v[58:59], v[88:89], s[18:19], v[60:61]
	v_fma_f64 v[60:61], v[88:89], s[18:19], v[82:83]
	;; [unrolled: 1-line block ×12, first 2 shown]
	v_add_nc_u32_e32 v68, 0x400, v143
	v_add_nc_u32_e32 v69, 0xc00, v143
	;; [unrolled: 1-line block ×4, first 2 shown]
	ds_store_2addr_b64 v102, v[54:55], v[58:59] offset1:51
	ds_store_2addr_b64 v102, v[74:75], v[24:25] offset0:102 offset1:153
	ds_store_b64 v102, v[60:61] offset:1632
	ds_store_2addr_b64 v101, v[52:53], v[62:63] offset1:51
	ds_store_2addr_b64 v101, v[72:73], v[26:27] offset0:102 offset1:153
	ds_store_b64 v101, v[66:67] offset:1632
	;; [unrolled: 3-line block ×3, first 2 shown]
	s_waitcnt lgkmcnt(0)
	s_barrier
	buffer_gl0_inv
	ds_load_2addr_b64 v[52:55], v143 offset1:119
	ds_load_2addr_b64 v[64:67], v68 offset0:127 offset1:246
	ds_load_2addr_b64 v[68:71], v69 offset0:126 offset1:245
	;; [unrolled: 1-line block ×6, first 2 shown]
                                        ; implicit-def: $vgpr82_vgpr83
                                        ; implicit-def: $vgpr26_vgpr27
	s_and_saveexec_b32 s1, s0
	s_cbranch_execz .LBB0_19
; %bb.18:
	v_add_nc_u32_e32 v8, 0x770, v143
	v_add_nc_u32_e32 v12, 0x1760, v143
	;; [unrolled: 1-line block ×3, first 2 shown]
	ds_load_2addr_b64 v[8:11], v8 offset1:255
	ds_load_2addr_b64 v[12:15], v12 offset1:255
	;; [unrolled: 1-line block ×3, first 2 shown]
	ds_load_b64 v[82:83], v143 offset:14144
.LBB0_19:
	s_or_b32 exec_lo, exec_lo, s1
	s_and_saveexec_b32 s1, vcc_lo
	s_cbranch_execz .LBB0_22
; %bb.20:
	v_mul_lo_u32 v151, s3, v106
	v_mul_lo_u32 v152, s2, v107
	v_mad_u64_u32 v[138:139], null, s2, v106, 0
	v_mad_u64_u32 v[106:107], null, s12, v142, 0
	v_mul_hi_u32 v153, 0x80808081, v109
	v_mul_u32_u24_e32 v84, 6, v109
	v_mul_u32_u24_e32 v85, 6, v142
	v_add_nc_u32_e32 v175, 0x3fc, v142
	v_add3_u32 v139, v139, v152, v151
	v_lshlrev_b64 v[104:105], 4, v[104:105]
	s_mov_b32 s24, 0xe976ee23
	s_mov_b32 s22, 0x36b3c0b5
	v_lshrrev_b32_e32 v170, 7, v153
	v_mad_u64_u32 v[153:154], null, s13, v142, v[107:108]
	v_add_nc_u32_e32 v172, 0xff, v142
	v_mad_u64_u32 v[147:148], null, s12, v175, 0
	s_delay_alu instid0(VALU_DEP_4) | instskip(SKIP_1) | instid1(VALU_DEP_4)
	v_mad_u32_u24 v184, 0x5fa, v170, v109
	v_lshlrev_b64 v[138:139], 4, v[138:139]
	v_mad_u64_u32 v[140:141], null, s12, v172, 0
	v_lshlrev_b32_e32 v126, 4, v84
	s_mov_b32 s26, 0x37e14327
	s_mov_b32 s20, 0x429ad128
	;; [unrolled: 1-line block ×5, first 2 shown]
	s_delay_alu instid0(VALU_DEP_2)
	v_mov_b32_e32 v107, v141
	s_mov_b32 s21, 0x3febfeb5
	s_mov_b32 s16, 0xb247c609
	;; [unrolled: 1-line block ×4, first 2 shown]
	v_mad_u64_u32 v[170:171], null, s13, v172, v[107:108]
	v_dual_mov_b32 v107, v153 :: v_dual_add_nc_u32 v174, 0x2fd, v142
	s_mov_b32 s17, 0x3fd5d0dc
	s_mov_b32 s7, 0xbff2aaaa
	;; [unrolled: 1-line block ×3, first 2 shown]
	s_delay_alu instid0(VALU_DEP_1)
	v_mad_u64_u32 v[145:146], null, s12, v174, 0
	v_add_nc_u32_e32 v173, 0x1fe, v142
	s_mov_b32 s15, 0xbfe77f67
	s_mov_b32 s9, 0x3fe77f67
	;; [unrolled: 1-line block ×4, first 2 shown]
	v_mad_u64_u32 v[143:144], null, s12, v173, 0
	v_lshlrev_b32_e32 v134, 4, v85
	s_mov_b32 s2, 0x37c3f68c
	s_mov_b32 s3, 0x3fdc38aa
	s_delay_alu instid0(VALU_DEP_2)
	v_mov_b32_e32 v141, v144
	s_clause 0xb
	global_load_b128 v[84:87], v126, s[4:5] offset:3824
	global_load_b128 v[88:91], v126, s[4:5] offset:3872
	;; [unrolled: 1-line block ×12, first 2 shown]
	v_mov_b32_e32 v144, v146
	v_mov_b32_e32 v146, v148
	v_mad_u64_u32 v[171:172], null, s13, v173, v[141:142]
	v_mov_b32_e32 v141, v170
	s_delay_alu instid0(VALU_DEP_4) | instskip(NEXT) | instid1(VALU_DEP_4)
	v_mad_u64_u32 v[172:173], null, s13, v174, v[144:145]
	v_mad_u64_u32 v[173:174], null, s13, v175, v[146:147]
	s_delay_alu instid0(VALU_DEP_4) | instskip(NEXT) | instid1(VALU_DEP_3)
	v_mov_b32_e32 v144, v171
	v_mov_b32_e32 v146, v172
	s_waitcnt vmcnt(11)
	v_mul_f64 v[154:155], v[42:43], v[86:87]
	s_waitcnt vmcnt(10)
	v_mul_f64 v[156:157], v[50:51], v[90:91]
	;; [unrolled: 2-line block ×3, first 2 shown]
	s_waitcnt lgkmcnt(5)
	v_mul_f64 v[94:95], v[66:67], v[94:95]
	s_waitcnt vmcnt(7)
	v_mul_f64 v[162:163], v[40:41], v[102:103]
	s_waitcnt vmcnt(6)
	v_mul_f64 v[164:165], v[48:49], v[112:113]
	s_waitcnt lgkmcnt(4)
	v_mul_f64 v[102:103], v[68:69], v[102:103]
	s_waitcnt lgkmcnt(1)
	v_mul_f64 v[112:113], v[76:77], v[112:113]
	v_mul_f64 v[160:161], v[46:47], v[98:99]
	s_waitcnt lgkmcnt(0)
	v_mul_f64 v[98:99], v[74:75], v[98:99]
	s_waitcnt vmcnt(1)
	v_mul_f64 v[179:180], v[60:61], v[132:133]
	s_waitcnt vmcnt(0)
	v_mul_f64 v[181:182], v[56:57], v[136:137]
	v_mul_f64 v[136:137], v[28:29], v[136:137]
	;; [unrolled: 1-line block ×11, first 2 shown]
	v_fma_f64 v[70:71], v[70:71], v[84:85], v[154:155]
	v_fma_f64 v[78:79], v[78:79], v[88:89], v[156:157]
	;; [unrolled: 1-line block ×3, first 2 shown]
	v_add_nc_u32_e32 v159, 0x2fd, v184
	v_fma_f64 v[38:39], v[38:39], v[92:93], -v[94:95]
	v_fma_f64 v[76:77], v[76:77], v[110:111], v[164:165]
	v_fma_f64 v[40:41], v[40:41], v[100:101], -v[102:103]
	v_fma_f64 v[48:49], v[48:49], v[110:111], -v[112:113]
	v_mad_u64_u32 v[94:95], null, s12, v159, 0
	v_add_nc_u32_e32 v158, 0x1fe, v184
	v_fma_f64 v[74:75], v[74:75], v[96:97], v[160:161]
	v_fma_f64 v[46:47], v[46:47], v[96:97], -v[98:99]
	v_fma_f64 v[56:57], v[56:57], v[134:135], v[136:137]
	v_fma_f64 v[60:61], v[60:61], v[130:131], v[132:133]
	v_mad_u64_u32 v[92:93], null, s12, v158, 0
	v_add_nc_u32_e32 v176, 0x4fb, v142
	v_fma_f64 v[42:43], v[42:43], v[84:85], -v[86:87]
	v_fma_f64 v[50:51], v[50:51], v[88:89], -v[90:91]
	;; [unrolled: 1-line block ×3, first 2 shown]
	v_fma_f64 v[58:59], v[58:59], v[126:127], v[128:129]
	v_fma_f64 v[68:69], v[68:69], v[100:101], v[162:163]
	;; [unrolled: 1-line block ×4, first 2 shown]
	v_fma_f64 v[36:37], v[36:37], v[114:115], -v[116:117]
	v_fma_f64 v[44:45], v[44:45], v[118:119], -v[120:121]
	v_add_co_u32 v119, vcc_lo, s10, v138
	v_add_co_ci_u32_e32 v120, vcc_lo, s11, v139, vcc_lo
	v_fma_f64 v[86:87], v[28:29], v[134:135], -v[181:182]
	s_delay_alu instid0(VALU_DEP_3) | instskip(NEXT) | instid1(VALU_DEP_3)
	v_add_co_u32 v28, vcc_lo, v119, v104
	v_add_co_ci_u32_e32 v29, vcc_lo, v120, v105, vcc_lo
	v_lshlrev_b64 v[104:105], 4, v[106:107]
	v_fma_f64 v[32:33], v[32:33], v[130:131], -v[179:180]
	v_add_nc_u32_e32 v161, 0x4fb, v184
	v_add_f64 v[88:89], v[70:71], v[78:79]
	v_add_nc_u32_e32 v160, 0x3fc, v184
	v_add_nc_u32_e32 v157, 0xff, v184
	v_add_co_u32 v104, vcc_lo, v28, v104
	v_mad_u64_u32 v[102:103], null, s12, v161, 0
	v_add_f64 v[109:110], v[40:41], v[48:49]
	v_add_f64 v[40:41], v[40:41], -v[48:49]
	v_mov_b32_e32 v49, v93
	v_mad_u64_u32 v[149:150], null, s12, v176, 0
	v_add_nc_u32_e32 v183, 0x5fa, v142
	v_add_f64 v[90:91], v[66:67], v[74:75]
	v_add_f64 v[117:118], v[38:39], v[46:47]
	v_add_f64 v[38:39], v[38:39], -v[46:47]
	v_add_f64 v[47:48], v[60:61], v[56:57]
	v_mad_u64_u32 v[84:85], null, s12, v157, 0
	v_mov_b32_e32 v148, v150
	v_add_f64 v[115:116], v[42:43], v[50:51]
	v_add_f64 v[42:43], v[42:43], -v[50:51]
	v_add_f64 v[96:97], v[68:69], v[76:77]
	v_add_f64 v[98:99], v[64:65], v[72:73]
	v_mad_u64_u32 v[174:175], null, s13, v176, v[148:149]
	v_mul_f64 v[175:176], v[62:63], v[124:125]
	v_mul_f64 v[124:125], v[34:35], v[124:125]
	v_add_f64 v[111:112], v[36:37], v[44:45]
	v_mad_u64_u32 v[151:152], null, s12, v183, 0
	v_add_f64 v[44:45], v[36:37], -v[44:45]
	v_add_f64 v[56:57], v[60:61], -v[56:57]
	;; [unrolled: 1-line block ×5, first 2 shown]
	v_add_nc_u32_e32 v162, 0x5fa, v184
	v_mov_b32_e32 v150, v152
	v_mad_u64_u32 v[100:101], null, s12, v160, 0
	v_lshlrev_b64 v[68:69], 4, v[145:146]
	v_add_co_ci_u32_e32 v105, vcc_lo, v29, v105, vcc_lo
	s_delay_alu instid0(VALU_DEP_4) | instskip(SKIP_1) | instid1(VALU_DEP_2)
	v_mad_u64_u32 v[154:155], null, s13, v183, v[150:151]
	v_mad_u64_u32 v[155:156], null, s12, v184, 0
	v_dual_mov_b32 v93, v101 :: v_dual_mov_b32 v152, v154
	s_delay_alu instid0(VALU_DEP_2)
	v_mov_b32_e32 v46, v156
	v_add_f64 v[74:75], v[115:116], v[117:118]
	v_add_f64 v[132:133], v[42:43], -v[38:39]
	v_add_f64 v[36:37], v[96:97], v[98:99]
	v_fma_f64 v[34:35], v[34:35], v[122:123], -v[175:176]
	v_fma_f64 v[62:63], v[62:63], v[122:123], v[124:125]
	v_mad_u64_u32 v[123:124], null, s13, v184, v[46:47]
	v_mov_b32_e32 v46, v85
	v_add_f64 v[76:77], v[109:110], v[111:112]
	v_mov_b32_e32 v85, v95
	v_mov_b32_e32 v95, v103
	v_mad_u64_u32 v[113:114], null, s12, v162, 0
	v_mad_u64_u32 v[134:135], null, s13, v157, v[46:47]
	v_mov_b32_e32 v148, v173
	v_lshlrev_b64 v[121:122], 4, v[151:152]
	s_delay_alu instid0(VALU_DEP_4) | instskip(NEXT) | instid1(VALU_DEP_3)
	v_mov_b32_e32 v101, v114
	v_lshlrev_b64 v[72:73], 4, v[147:148]
	v_mul_f64 v[163:164], v[132:133], s[20:21]
	v_add_f64 v[106:107], v[34:35], -v[30:31]
	v_add_f64 v[50:51], v[62:63], v[58:59]
	v_add_f64 v[30:31], v[34:35], v[30:31]
	v_add_f64 v[34:35], v[62:63], -v[58:59]
	v_add_f64 v[58:59], v[70:71], -v[78:79]
	v_add_f64 v[70:71], v[88:89], v[90:91]
	v_add_f64 v[62:63], v[32:33], -v[86:87]
	v_add_f64 v[32:33], v[32:33], v[86:87]
	v_lshlrev_b64 v[78:79], 4, v[140:141]
	v_add_f64 v[139:140], v[98:99], -v[47:48]
	v_lshlrev_b64 v[86:87], 4, v[143:144]
	v_add_f64 v[143:144], v[40:41], -v[44:45]
	s_delay_alu instid0(VALU_DEP_4) | instskip(SKIP_1) | instid1(VALU_DEP_4)
	v_add_co_u32 v78, vcc_lo, v28, v78
	v_add_co_ci_u32_e32 v79, vcc_lo, v29, v79, vcc_lo
	v_add_co_u32 v165, vcc_lo, v28, v86
	v_add_co_ci_u32_e32 v166, vcc_lo, v29, v87, vcc_lo
	v_add_f64 v[124:125], v[106:107], -v[42:43]
	v_add_f64 v[126:127], v[90:91], -v[50:51]
	;; [unrolled: 1-line block ×5, first 2 shown]
	v_add_f64 v[50:51], v[50:51], v[70:71]
	v_add_f64 v[137:138], v[62:63], -v[40:41]
	v_add_f64 v[70:71], v[111:112], -v[32:33]
	v_add_f64 v[76:77], v[32:33], v[76:77]
	v_add_f64 v[153:154], v[32:33], -v[109:110]
	v_add_f64 v[156:157], v[58:59], -v[66:67]
	v_add_f64 v[74:75], v[30:31], v[74:75]
	v_add_f64 v[42:43], v[106:107], v[42:43]
	v_add_f64 v[106:107], v[38:39], -v[106:107]
	v_add_f64 v[58:59], v[34:35], v[58:59]
	v_add_f64 v[40:41], v[62:63], v[40:41]
	v_add_f64 v[88:89], v[88:89], -v[90:91]
	v_add_f64 v[90:91], v[115:116], -v[117:118]
	;; [unrolled: 1-line block ×4, first 2 shown]
	v_mul_f64 v[124:125], v[124:125], s[24:25]
	v_mul_f64 v[126:127], v[126:127], s[26:27]
	;; [unrolled: 1-line block ×4, first 2 shown]
	v_mad_u64_u32 v[145:146], null, s13, v158, v[49:50]
	v_mov_b32_e32 v150, v174
	v_add_f64 v[146:147], v[47:48], v[36:37]
	v_add_f64 v[46:47], v[47:48], -v[96:97]
	v_add_f64 v[48:49], v[56:57], -v[60:61]
	v_add_f64 v[32:33], v[54:55], v[50:51]
	v_lshlrev_b64 v[119:120], 4, v[149:150]
	v_add_f64 v[148:149], v[60:61], -v[64:65]
	v_mad_u64_u32 v[150:151], null, s13, v159, v[85:86]
	v_add_f64 v[151:152], v[30:31], -v[115:116]
	v_mad_u64_u32 v[158:159], null, s13, v160, v[93:94]
	v_mov_b32_e32 v93, v145
	v_mad_u64_u32 v[159:160], null, s13, v161, v[95:96]
	v_mad_u64_u32 v[160:161], null, s13, v162, v[101:102]
	v_add_f64 v[161:162], v[66:67], -v[34:35]
	v_add_f64 v[60:61], v[56:57], v[60:61]
	v_mul_f64 v[114:115], v[135:136], s[22:23]
	v_mul_f64 v[116:117], v[137:138], s[24:25]
	;; [unrolled: 1-line block ×4, first 2 shown]
	v_add_f64 v[56:57], v[64:65], -v[56:57]
	v_add_f64 v[34:35], v[20:21], v[76:77]
	v_mul_f64 v[137:138], v[143:144], s[20:21]
	v_mul_f64 v[111:112], v[153:154], s[22:23]
	;; [unrolled: 1-line block ×3, first 2 shown]
	v_add_f64 v[30:31], v[22:23], v[74:75]
	v_add_f64 v[22:23], v[42:43], v[38:39]
	;; [unrolled: 1-line block ×4, first 2 shown]
	v_fma_f64 v[44:45], v[106:107], s[16:17], v[124:125]
	v_fma_f64 v[58:59], v[135:136], s[22:23], v[126:127]
	v_fma_f64 v[66:67], v[106:107], s[18:19], -v[163:164]
	v_fma_f64 v[85:86], v[88:89], s[14:15], -v[126:127]
	;; [unrolled: 1-line block ×3, first 2 shown]
	v_mov_b32_e32 v103, v159
	v_mov_b32_e32 v101, v158
	v_add_f64 v[36:37], v[52:53], v[146:147]
	v_add_f64 v[52:53], v[96:97], -v[98:99]
	v_mul_f64 v[95:96], v[46:47], s[22:23]
	v_mul_f64 v[48:49], v[48:49], s[24:25]
	v_fma_f64 v[50:51], v[50:51], s[6:7], v[32:33]
	v_mul_f64 v[97:98], v[148:149], s[20:21]
	v_lshlrev_b64 v[102:103], 4, v[102:103]
	v_lshlrev_b64 v[100:101], 4, v[100:101]
	v_mul_f64 v[20:21], v[151:152], s[22:23]
	v_add_f64 v[42:43], v[60:61], v[64:65]
	v_fma_f64 v[60:61], v[151:152], s[22:23], v[128:129]
	v_fma_f64 v[87:88], v[88:89], s[8:9], -v[114:115]
	v_fma_f64 v[114:115], v[132:133], s[20:21], -v[124:125]
	v_fma_f64 v[124:125], v[62:63], s[16:17], v[116:117]
	v_fma_f64 v[46:47], v[46:47], s[22:23], v[54:55]
	;; [unrolled: 1-line block ×3, first 2 shown]
	v_fma_f64 v[116:117], v[143:144], s[20:21], -v[116:117]
	v_fma_f64 v[76:77], v[76:77], s[6:7], v[34:35]
	v_fma_f64 v[62:63], v[62:63], s[18:19], -v[137:138]
	v_fma_f64 v[70:71], v[109:110], s[14:15], -v[70:71]
	v_fma_f64 v[64:65], v[161:162], s[16:17], v[130:131]
	v_fma_f64 v[74:75], v[74:75], s[6:7], v[30:31]
	v_add_co_u32 v89, vcc_lo, v28, v68
	v_fma_f64 v[132:133], v[22:23], s[2:3], v[44:45]
	v_fma_f64 v[66:67], v[22:23], s[2:3], v[66:67]
	;; [unrolled: 1-line block ×3, first 2 shown]
	v_fma_f64 v[54:55], v[52:53], s[14:15], -v[54:55]
	v_fma_f64 v[52:53], v[52:53], s[8:9], -v[95:96]
	v_fma_f64 v[95:96], v[56:57], s[16:17], v[48:49]
	v_fma_f64 v[48:49], v[148:149], s[20:21], -v[48:49]
	v_fma_f64 v[56:57], v[56:57], s[18:19], -v[97:98]
	v_fma_f64 v[97:98], v[109:110], s[8:9], -v[111:112]
	v_fma_f64 v[109:110], v[161:162], s[18:19], -v[139:140]
	v_fma_f64 v[111:112], v[156:157], s[20:21], -v[130:131]
	v_fma_f64 v[20:21], v[90:91], s[8:9], -v[20:21]
	v_add_co_ci_u32_e32 v90, vcc_lo, v29, v69, vcc_lo
	v_add_co_u32 v130, vcc_lo, v28, v72
	v_add_co_ci_u32_e32 v131, vcc_lo, v29, v73, vcc_lo
	v_add_f64 v[135:136], v[58:59], v[50:51]
	v_add_f64 v[58:59], v[85:86], v[50:51]
	v_mov_b32_e32 v156, v123
	v_add_f64 v[50:51], v[87:88], v[50:51]
	v_fma_f64 v[68:69], v[22:23], s[2:3], v[114:115]
	v_fma_f64 v[124:125], v[40:41], s[2:3], v[124:125]
	v_add_co_u32 v118, vcc_lo, v28, v119
	v_fma_f64 v[72:73], v[40:41], s[2:3], v[116:117]
	v_add_f64 v[126:127], v[126:127], v[76:77]
	v_fma_f64 v[62:63], v[40:41], s[2:3], v[62:63]
	v_add_f64 v[137:138], v[70:71], v[76:77]
	v_mov_b32_e32 v85, v134
	v_add_f64 v[106:107], v[106:107], v[74:75]
	v_add_co_ci_u32_e32 v119, vcc_lo, v29, v120, vcc_lo
	v_lshlrev_b64 v[22:23], 4, v[155:156]
	v_add_co_u32 v120, vcc_lo, v28, v121
	v_add_co_ci_u32_e32 v121, vcc_lo, v29, v122, vcc_lo
	v_lshlrev_b64 v[122:123], 4, v[84:85]
	v_add_f64 v[46:47], v[46:47], v[128:129]
	v_add_f64 v[54:55], v[54:55], v[128:129]
	;; [unrolled: 1-line block ×3, first 2 shown]
	v_fma_f64 v[115:116], v[42:43], s[2:3], v[95:96]
	v_add_co_u32 v139, vcc_lo, v28, v22
	v_fma_f64 v[128:129], v[42:43], s[2:3], v[56:57]
	v_fma_f64 v[42:43], v[42:43], s[2:3], v[48:49]
	v_add_f64 v[96:97], v[97:98], v[76:77]
	v_fma_f64 v[98:99], v[38:39], s[2:3], v[64:65]
	v_fma_f64 v[109:110], v[38:39], s[2:3], v[109:110]
	;; [unrolled: 1-line block ×3, first 2 shown]
	v_add_f64 v[111:112], v[60:61], v[74:75]
	v_add_f64 v[20:21], v[20:21], v[74:75]
	v_add_co_ci_u32_e32 v140, vcc_lo, v29, v23, vcc_lo
	v_add_f64 v[22:23], v[132:133], v[135:136]
	v_add_f64 v[40:41], v[66:67], v[58:59]
	v_add_f64 v[52:53], v[58:59], -v[66:67]
	v_mov_b32_e32 v95, v150
	v_add_f64 v[44:45], v[50:51], -v[68:69]
	v_add_f64 v[48:49], v[68:69], v[50:51]
	v_lshlrev_b64 v[91:92], 4, v[92:93]
	v_mov_b32_e32 v114, v160
	v_lshlrev_b64 v[93:94], 4, v[94:95]
	v_add_co_u32 v95, vcc_lo, v28, v122
	s_delay_alu instid0(VALU_DEP_3)
	v_lshlrev_b64 v[113:114], 4, v[113:114]
	v_add_f64 v[76:77], v[46:47], -v[124:125]
	v_add_f64 v[60:61], v[62:63], v[54:55]
	v_add_f64 v[64:65], v[86:87], -v[72:73]
	v_add_f64 v[74:75], v[115:116], v[126:127]
	v_add_f64 v[68:69], v[72:73], v[86:87]
	v_add_f64 v[72:73], v[54:55], -v[62:63]
	v_add_f64 v[70:71], v[128:129], v[137:138]
	v_add_f64 v[58:59], v[137:138], -v[128:129]
	v_add_f64 v[66:67], v[96:97], -v[42:43]
	v_add_f64 v[62:63], v[42:43], v[96:97]
	v_add_f64 v[56:57], v[124:125], v[46:47]
	v_add_f64 v[54:55], v[126:127], -v[115:116]
	v_add_f64 v[86:87], v[135:136], -v[132:133]
	v_add_f64 v[84:85], v[98:99], v[111:112]
	v_add_f64 v[50:51], v[109:110], v[106:107]
	v_add_f64 v[46:47], v[20:21], -v[38:39]
	v_add_f64 v[42:43], v[38:39], v[20:21]
	v_add_f64 v[38:39], v[106:107], -v[109:110]
	v_add_f64 v[20:21], v[111:112], -v[98:99]
	v_add_co_ci_u32_e32 v96, vcc_lo, v29, v123, vcc_lo
	v_add_co_u32 v91, vcc_lo, v28, v91
	v_add_co_ci_u32_e32 v92, vcc_lo, v29, v92, vcc_lo
	v_add_co_u32 v93, vcc_lo, v28, v93
	;; [unrolled: 2-line block ×5, first 2 shown]
	v_add_co_ci_u32_e32 v102, vcc_lo, v29, v114, vcc_lo
	s_clause 0xd
	global_store_b128 v[104:105], v[34:37], off
	global_store_b128 v[78:79], v[74:77], off
	;; [unrolled: 1-line block ×14, first 2 shown]
	s_and_b32 exec_lo, exec_lo, s0
	s_cbranch_execz .LBB0_22
; %bb.21:
	v_subrev_nc_u32_e32 v20, 17, v142
	v_mov_b32_e32 v21, 0
	v_add_nc_u32_e32 v63, 0x4ea, v142
	v_add_nc_u32_e32 v65, 0x6e8, v142
	s_delay_alu instid0(VALU_DEP_4) | instskip(NEXT) | instid1(VALU_DEP_1)
	v_cndmask_b32_e64 v20, v20, v108, s0
	v_mul_i32_i24_e32 v20, 6, v20
	s_delay_alu instid0(VALU_DEP_1) | instskip(NEXT) | instid1(VALU_DEP_1)
	v_lshlrev_b64 v[20:21], 4, v[20:21]
	v_add_co_u32 v46, vcc_lo, s4, v20
	s_delay_alu instid0(VALU_DEP_2)
	v_add_co_ci_u32_e32 v47, vcc_lo, s5, v21, vcc_lo
	s_clause 0x5
	global_load_b128 v[20:23], v[46:47], off offset:3808
	global_load_b128 v[30:33], v[46:47], off offset:3824
	;; [unrolled: 1-line block ×6, first 2 shown]
	s_waitcnt vmcnt(5)
	v_mul_f64 v[50:51], v[10:11], v[22:23]
	v_mul_f64 v[22:23], v[2:3], v[22:23]
	s_waitcnt vmcnt(4)
	v_mul_f64 v[52:53], v[12:13], v[32:33]
	v_mul_f64 v[32:33], v[4:5], v[32:33]
	;; [unrolled: 3-line block ×6, first 2 shown]
	v_fma_f64 v[2:3], v[2:3], v[20:21], -v[50:51]
	v_fma_f64 v[10:11], v[10:11], v[20:21], v[22:23]
	v_fma_f64 v[4:5], v[4:5], v[30:31], -v[52:53]
	v_fma_f64 v[12:13], v[12:13], v[30:31], v[32:33]
	;; [unrolled: 2-line block ×6, first 2 shown]
	v_add_nc_u32_e32 v60, 0x1ed, v142
	v_add_nc_u32_e32 v61, 0x2ec, v142
	v_add_f64 v[30:31], v[2:3], v[20:21]
	v_add_f64 v[32:33], v[10:11], v[22:23]
	;; [unrolled: 1-line block ×4, first 2 shown]
	v_add_f64 v[4:5], v[4:5], -v[18:19]
	v_add_f64 v[12:13], v[12:13], -v[26:27]
	v_add_f64 v[18:19], v[6:7], v[16:17]
	v_add_f64 v[26:27], v[14:15], v[24:25]
	v_add_f64 v[6:7], v[16:17], -v[6:7]
	v_add_f64 v[14:15], v[24:25], -v[14:15]
	;; [unrolled: 1-line block ×4, first 2 shown]
	v_add_f64 v[2:3], v[34:35], v[30:31]
	v_add_f64 v[20:21], v[36:37], v[32:33]
	v_add_f64 v[22:23], v[30:31], -v[18:19]
	v_add_f64 v[24:25], v[32:33], -v[26:27]
	;; [unrolled: 1-line block ×6, first 2 shown]
	v_add_f64 v[4:5], v[6:7], v[4:5]
	v_add_f64 v[12:13], v[14:15], v[12:13]
	v_add_f64 v[6:7], v[16:17], -v[6:7]
	v_add_f64 v[14:15], v[10:11], -v[14:15]
	v_add_f64 v[46:47], v[18:19], v[2:3]
	v_add_f64 v[20:21], v[26:27], v[20:21]
	v_add_f64 v[18:19], v[18:19], -v[34:35]
	v_add_f64 v[26:27], v[26:27], -v[36:37]
	v_mul_f64 v[22:23], v[22:23], s[26:27]
	v_mul_f64 v[24:25], v[24:25], s[26:27]
	;; [unrolled: 1-line block ×6, first 2 shown]
	v_add_f64 v[4:5], v[4:5], v[16:17]
	v_add_f64 v[10:11], v[12:13], v[10:11]
	;; [unrolled: 1-line block ×4, first 2 shown]
	v_add_f64 v[8:9], v[34:35], -v[30:31]
	v_add_f64 v[30:31], v[36:37], -v[32:33]
	v_mul_f64 v[32:33], v[18:19], s[22:23]
	v_mul_f64 v[34:35], v[26:27], s[22:23]
	v_fma_f64 v[12:13], v[18:19], s[22:23], v[22:23]
	v_fma_f64 v[16:17], v[26:27], s[22:23], v[24:25]
	;; [unrolled: 1-line block ×4, first 2 shown]
	v_fma_f64 v[36:37], v[42:43], s[20:21], -v[38:39]
	v_fma_f64 v[38:39], v[44:45], s[20:21], -v[40:41]
	;; [unrolled: 1-line block ×4, first 2 shown]
	v_mad_u64_u32 v[42:43], null, s12, v61, 0
	v_mad_u64_u32 v[50:51], null, s12, v65, 0
	v_fma_f64 v[40:41], v[46:47], s[6:7], v[0:1]
	v_fma_f64 v[20:21], v[20:21], s[6:7], v[2:3]
	v_fma_f64 v[22:23], v[8:9], s[14:15], -v[22:23]
	v_fma_f64 v[24:25], v[30:31], s[14:15], -v[24:25]
	;; [unrolled: 1-line block ×4, first 2 shown]
	v_mad_u64_u32 v[32:33], null, s12, v108, 0
	v_mad_u64_u32 v[34:35], null, s12, v60, 0
	v_fma_f64 v[52:53], v[4:5], s[2:3], v[18:19]
	v_fma_f64 v[26:27], v[10:11], s[2:3], v[26:27]
	;; [unrolled: 1-line block ×5, first 2 shown]
	v_mov_b32_e32 v6, v43
	v_fma_f64 v[54:55], v[10:11], s[2:3], v[14:15]
	v_add_nc_u32_e32 v62, 0x3eb, v142
	v_mad_u64_u32 v[4:5], null, s13, v108, v[33:34]
	v_mov_b32_e32 v5, v35
	v_mad_u64_u32 v[46:47], null, s12, v63, 0
	s_delay_alu instid0(VALU_DEP_4) | instskip(SKIP_2) | instid1(VALU_DEP_3)
	v_mad_u64_u32 v[44:45], null, s12, v62, 0
	v_add_nc_u32_e32 v64, 0x5e9, v142
	v_dual_mov_b32 v10, v51 :: v_dual_mov_b32 v33, v4
	v_mov_b32_e32 v7, v45
	s_delay_alu instid0(VALU_DEP_3)
	v_mad_u64_u32 v[48:49], null, s12, v64, 0
	v_add_f64 v[56:57], v[12:13], v[40:41]
	v_add_f64 v[58:59], v[16:17], v[20:21]
	v_add_f64 v[22:23], v[22:23], v[40:41]
	v_add_f64 v[24:25], v[24:25], v[20:21]
	v_add_f64 v[16:17], v[8:9], v[40:41]
	v_add_f64 v[20:21], v[30:31], v[20:21]
	v_mov_b32_e32 v8, v47
	v_mad_u64_u32 v[11:12], null, s13, v60, v[5:6]
	v_mov_b32_e32 v9, v49
	v_mad_u64_u32 v[12:13], null, s13, v61, v[6:7]
	s_delay_alu instid0(VALU_DEP_4) | instskip(NEXT) | instid1(VALU_DEP_3)
	v_mad_u64_u32 v[5:6], null, s13, v62, v[7:8]
	v_mad_u64_u32 v[6:7], null, s13, v63, v[8:9]
	;; [unrolled: 1-line block ×4, first 2 shown]
	s_delay_alu instid0(VALU_DEP_4)
	v_mov_b32_e32 v45, v5
	v_mov_b32_e32 v35, v11
	;; [unrolled: 1-line block ×5, first 2 shown]
	v_lshlrev_b64 v[30:31], 4, v[32:33]
	v_mov_b32_e32 v51, v8
	v_lshlrev_b64 v[32:33], 4, v[34:35]
	v_lshlrev_b64 v[34:35], 4, v[42:43]
	;; [unrolled: 1-line block ×3, first 2 shown]
	v_add_co_u32 v30, vcc_lo, v28, v30
	v_add_co_ci_u32_e32 v31, vcc_lo, v29, v31, vcc_lo
	v_add_co_u32 v32, vcc_lo, v28, v32
	v_add_co_ci_u32_e32 v33, vcc_lo, v29, v33, vcc_lo
	v_add_f64 v[4:5], v[26:27], v[56:57]
	v_add_f64 v[6:7], v[58:59], -v[52:53]
	v_add_f64 v[8:9], v[54:55], v[22:23]
	v_add_f64 v[10:11], v[24:25], -v[38:39]
	v_add_f64 v[12:13], v[16:17], -v[36:37]
	v_add_f64 v[14:15], v[18:19], v[20:21]
	v_add_f64 v[16:17], v[36:37], v[16:17]
	v_add_f64 v[18:19], v[20:21], -v[18:19]
	v_add_f64 v[20:21], v[22:23], -v[54:55]
	v_add_f64 v[22:23], v[38:39], v[24:25]
	v_add_f64 v[24:25], v[56:57], -v[26:27]
	v_add_f64 v[26:27], v[52:53], v[58:59]
	v_lshlrev_b64 v[36:37], 4, v[46:47]
	v_add_co_u32 v34, vcc_lo, v28, v34
	v_add_co_ci_u32_e32 v35, vcc_lo, v29, v35, vcc_lo
	v_lshlrev_b64 v[38:39], 4, v[48:49]
	v_add_co_u32 v40, vcc_lo, v28, v40
	v_add_co_ci_u32_e32 v41, vcc_lo, v29, v41, vcc_lo
	;; [unrolled: 3-line block ×3, first 2 shown]
	v_add_co_u32 v38, vcc_lo, v28, v38
	v_add_co_ci_u32_e32 v39, vcc_lo, v29, v39, vcc_lo
	v_add_co_u32 v28, vcc_lo, v28, v42
	v_add_co_ci_u32_e32 v29, vcc_lo, v29, v43, vcc_lo
	s_clause 0x6
	global_store_b128 v[30:31], v[0:3], off
	global_store_b128 v[32:33], v[4:7], off
	;; [unrolled: 1-line block ×7, first 2 shown]
.LBB0_22:
	s_nop 0
	s_sendmsg sendmsg(MSG_DEALLOC_VGPRS)
	s_endpgm
	.section	.rodata,"a",@progbits
	.p2align	6, 0x0
	.amdhsa_kernel fft_rtc_fwd_len1785_factors_17_3_5_7_wgs_119_tpt_119_halfLds_dp_op_CI_CI_sbrr_dirReg
		.amdhsa_group_segment_fixed_size 0
		.amdhsa_private_segment_fixed_size 0
		.amdhsa_kernarg_size 104
		.amdhsa_user_sgpr_count 15
		.amdhsa_user_sgpr_dispatch_ptr 0
		.amdhsa_user_sgpr_queue_ptr 0
		.amdhsa_user_sgpr_kernarg_segment_ptr 1
		.amdhsa_user_sgpr_dispatch_id 0
		.amdhsa_user_sgpr_private_segment_size 0
		.amdhsa_wavefront_size32 1
		.amdhsa_uses_dynamic_stack 0
		.amdhsa_enable_private_segment 0
		.amdhsa_system_sgpr_workgroup_id_x 1
		.amdhsa_system_sgpr_workgroup_id_y 0
		.amdhsa_system_sgpr_workgroup_id_z 0
		.amdhsa_system_sgpr_workgroup_info 0
		.amdhsa_system_vgpr_workitem_id 0
		.amdhsa_next_free_vgpr 211
		.amdhsa_next_free_sgpr 62
		.amdhsa_reserve_vcc 1
		.amdhsa_float_round_mode_32 0
		.amdhsa_float_round_mode_16_64 0
		.amdhsa_float_denorm_mode_32 3
		.amdhsa_float_denorm_mode_16_64 3
		.amdhsa_dx10_clamp 1
		.amdhsa_ieee_mode 1
		.amdhsa_fp16_overflow 0
		.amdhsa_workgroup_processor_mode 1
		.amdhsa_memory_ordered 1
		.amdhsa_forward_progress 0
		.amdhsa_shared_vgpr_count 0
		.amdhsa_exception_fp_ieee_invalid_op 0
		.amdhsa_exception_fp_denorm_src 0
		.amdhsa_exception_fp_ieee_div_zero 0
		.amdhsa_exception_fp_ieee_overflow 0
		.amdhsa_exception_fp_ieee_underflow 0
		.amdhsa_exception_fp_ieee_inexact 0
		.amdhsa_exception_int_div_zero 0
	.end_amdhsa_kernel
	.text
.Lfunc_end0:
	.size	fft_rtc_fwd_len1785_factors_17_3_5_7_wgs_119_tpt_119_halfLds_dp_op_CI_CI_sbrr_dirReg, .Lfunc_end0-fft_rtc_fwd_len1785_factors_17_3_5_7_wgs_119_tpt_119_halfLds_dp_op_CI_CI_sbrr_dirReg
                                        ; -- End function
	.section	.AMDGPU.csdata,"",@progbits
; Kernel info:
; codeLenInByte = 18604
; NumSgprs: 64
; NumVgprs: 211
; ScratchSize: 0
; MemoryBound: 1
; FloatMode: 240
; IeeeMode: 1
; LDSByteSize: 0 bytes/workgroup (compile time only)
; SGPRBlocks: 7
; VGPRBlocks: 26
; NumSGPRsForWavesPerEU: 64
; NumVGPRsForWavesPerEU: 211
; Occupancy: 7
; WaveLimiterHint : 1
; COMPUTE_PGM_RSRC2:SCRATCH_EN: 0
; COMPUTE_PGM_RSRC2:USER_SGPR: 15
; COMPUTE_PGM_RSRC2:TRAP_HANDLER: 0
; COMPUTE_PGM_RSRC2:TGID_X_EN: 1
; COMPUTE_PGM_RSRC2:TGID_Y_EN: 0
; COMPUTE_PGM_RSRC2:TGID_Z_EN: 0
; COMPUTE_PGM_RSRC2:TIDIG_COMP_CNT: 0
	.text
	.p2alignl 7, 3214868480
	.fill 96, 4, 3214868480
	.type	__hip_cuid_70a8a9cb6216a134,@object ; @__hip_cuid_70a8a9cb6216a134
	.section	.bss,"aw",@nobits
	.globl	__hip_cuid_70a8a9cb6216a134
__hip_cuid_70a8a9cb6216a134:
	.byte	0                               ; 0x0
	.size	__hip_cuid_70a8a9cb6216a134, 1

	.ident	"AMD clang version 19.0.0git (https://github.com/RadeonOpenCompute/llvm-project roc-6.4.0 25133 c7fe45cf4b819c5991fe208aaa96edf142730f1d)"
	.section	".note.GNU-stack","",@progbits
	.addrsig
	.addrsig_sym __hip_cuid_70a8a9cb6216a134
	.amdgpu_metadata
---
amdhsa.kernels:
  - .args:
      - .actual_access:  read_only
        .address_space:  global
        .offset:         0
        .size:           8
        .value_kind:     global_buffer
      - .offset:         8
        .size:           8
        .value_kind:     by_value
      - .actual_access:  read_only
        .address_space:  global
        .offset:         16
        .size:           8
        .value_kind:     global_buffer
      - .actual_access:  read_only
        .address_space:  global
        .offset:         24
        .size:           8
        .value_kind:     global_buffer
      - .actual_access:  read_only
        .address_space:  global
        .offset:         32
        .size:           8
        .value_kind:     global_buffer
      - .offset:         40
        .size:           8
        .value_kind:     by_value
      - .actual_access:  read_only
        .address_space:  global
        .offset:         48
        .size:           8
        .value_kind:     global_buffer
      - .actual_access:  read_only
        .address_space:  global
        .offset:         56
        .size:           8
        .value_kind:     global_buffer
      - .offset:         64
        .size:           4
        .value_kind:     by_value
      - .actual_access:  read_only
        .address_space:  global
        .offset:         72
        .size:           8
        .value_kind:     global_buffer
      - .actual_access:  read_only
        .address_space:  global
        .offset:         80
        .size:           8
        .value_kind:     global_buffer
      - .actual_access:  read_only
        .address_space:  global
        .offset:         88
        .size:           8
        .value_kind:     global_buffer
      - .actual_access:  write_only
        .address_space:  global
        .offset:         96
        .size:           8
        .value_kind:     global_buffer
    .group_segment_fixed_size: 0
    .kernarg_segment_align: 8
    .kernarg_segment_size: 104
    .language:       OpenCL C
    .language_version:
      - 2
      - 0
    .max_flat_workgroup_size: 119
    .name:           fft_rtc_fwd_len1785_factors_17_3_5_7_wgs_119_tpt_119_halfLds_dp_op_CI_CI_sbrr_dirReg
    .private_segment_fixed_size: 0
    .sgpr_count:     64
    .sgpr_spill_count: 0
    .symbol:         fft_rtc_fwd_len1785_factors_17_3_5_7_wgs_119_tpt_119_halfLds_dp_op_CI_CI_sbrr_dirReg.kd
    .uniform_work_group_size: 1
    .uses_dynamic_stack: false
    .vgpr_count:     211
    .vgpr_spill_count: 0
    .wavefront_size: 32
    .workgroup_processor_mode: 1
amdhsa.target:   amdgcn-amd-amdhsa--gfx1100
amdhsa.version:
  - 1
  - 2
...

	.end_amdgpu_metadata
